;; amdgpu-corpus repo=ROCm/aiter kind=harvested arch=n/a opt=n/a

/root/src/amdgpu-assembly/repos/ROCm__aiter/hsa/gfx950/fmoe_2stages/fmoe_stage1_bf16_pertokenFp8_g1u1_32x256_2tg_pf2.co:	file format elf64-amdgpu

Disassembly of section .text:

0000000000002a00 <_ZN5aiter48fmoe_stage1_bf16_pertokenFp8_g1u1_32x256_2tg_pf2E>:
	s_and_b32 s1, s1, 0xffff                                   // 000000002A00: 8601FF01 0000FFFF
	s_load_dwordx2 s[8:9], s[0:1], 0x0                         // 000000002A08: C0060200 00000000
	s_load_dwordx2 s[20:21], s[0:1], 0x10                      // 000000002A10: C0060500 00000010
	s_load_dwordx2 s[24:25], s[0:1], 0x20                      // 000000002A18: C0060600 00000020
	s_load_dwordx2 s[48:49], s[0:1], 0x30                      // 000000002A20: C0060C00 00000030
	s_load_dwordx2 s[28:29], s[0:1], 0x40                      // 000000002A28: C0060700 00000040
	s_load_dwordx2 s[32:33], s[0:1], 0x50                      // 000000002A30: C0060800 00000050
	s_load_dwordx2 s[36:37], s[0:1], 0x60                      // 000000002A38: C0060900 00000060
	s_load_dwordx2 s[12:13], s[0:1], 0x70                      // 000000002A40: C0060300 00000070
	s_load_dwordx2 s[44:45], s[0:1], 0x80                      // 000000002A48: C0060B00 00000080
	s_mov_b32 s89, 0                                           // 000000002A50: BED90080
	s_load_dword s64, s[0:1], 0x90                             // 000000002A54: C0021000 00000090
	s_load_dword s65, s[0:1], 0xa0                             // 000000002A5C: C0021040 000000A0
	s_load_dword s66, s[0:1], 0xb0                             // 000000002A64: C0021080 000000B0
	s_load_dword s67, s[0:1], 0xc0                             // 000000002A6C: C00210C0 000000C0
	s_load_dword s68, s[0:1], 0xd0                             // 000000002A74: C0021100 000000D0
	s_load_dword s69, s[0:1], 0xe0                             // 000000002A7C: C0021140 000000E0
	s_load_dword s71, s[0:1], 0xf0                             // 000000002A84: C00211C0 000000F0
	s_load_dword s72, s[0:1], 0x100                            // 000000002A8C: C0021200 00000100
	s_load_dword s74, s[0:1], 0x110                            // 000000002A94: C0021280 00000110
	s_load_dword s76, s[0:1], 0x120                            // 000000002A9C: C0021300 00000120
	s_load_dword s56, s[0:1], 0x130                            // 000000002AA4: C0020E00 00000130
	s_load_dword s88, s[0:1], 0x140                            // 000000002AAC: C0021600 00000140
	s_load_dword s89, s[0:1], 0x150                            // 000000002AB4: C0021640 00000150
	v_lshrrev_b32_e32 v1, 10, v0                               // 000000002ABC: 2002008A
	v_lshrrev_b32_e32 v2, 10, v1                               // 000000002AC0: 2004028A
	v_and_b32_e32 v2, 0x3ff, v2                                // 000000002AC4: 260404FF 000003FF
	v_and_b32_e32 v1, 0x3ff, v1                                // 000000002ACC: 260202FF 000003FF
	v_and_b32_e32 v0, 0x3ff, v0                                // 000000002AD4: 260000FF 000003FF
	v_lshrrev_b32_e32 v3, 6, v0                                // 000000002ADC: 20060086
	v_and_b32_e32 v0, 63, v0                                   // 000000002AE0: 260000BF
	s_mov_b32 s2, s2                                           // 000000002AE4: BE820002
	s_mov_b32 s3, s3                                           // 000000002AE8: BE830003
	s_mov_b32 s4, s4                                           // 000000002AEC: BE840004
	v_readfirstlane_b32 s7, v3                                 // 000000002AF0: 7E0E0503
	s_waitcnt lgkmcnt(0)                                       // 000000002AF4: BF8CC07F
	s_and_b32 s49, s49, 0xffff                                 // 000000002AF8: 8631FF31 0000FFFF
	s_load_dword s48, s[48:49], 0x0                            // 000000002B00: C0020C18 00000000
	s_and_b32 s45, s45, 0xffff                                 // 000000002B08: 862DFF2D 0000FFFF
	s_and_b32 s9, s9, 0xffff                                   // 000000002B10: 8609FF09 0000FFFF
	s_mul_i32 s60, s66, s68                                    // 000000002B18: 923C4442
	s_mul_i32 s61, s66, 4                                      // 000000002B1C: 923D8442
	s_mov_b32 s22, s60                                         // 000000002B20: BE96003C
	s_mov_b32 s26, -16                                         // 000000002B24: BE9A00D0
	s_mov_b32 s30, s61                                         // 000000002B28: BE9E003D
	s_mov_b32 s14, 0x80                                        // 000000002B2C: BE8E00FF 00000080
	s_mov_b32 s38, -16                                         // 000000002B34: BEA600D0
	s_mov_b32 s10, -16                                         // 000000002B38: BE8A00D0
	s_mov_b32 s34, 0x400                                       // 000000002B3C: BEA200FF 00000400
	s_mov_b32 s23, 0x20000                                     // 000000002B44: BE9700FF 00020000
	s_mov_b32 s27, 0x20000                                     // 000000002B4C: BE9B00FF 00020000
	s_mov_b32 s31, 0x20000                                     // 000000002B54: BE9F00FF 00020000
	s_mov_b32 s35, 0x20000                                     // 000000002B5C: BEA300FF 00020000
	s_mov_b32 s15, 0x20000                                     // 000000002B64: BE8F00FF 00020000
	s_mov_b32 s39, 0x20000                                     // 000000002B6C: BEA700FF 00020000
	s_mov_b32 s11, 0x20000                                     // 000000002B74: BE8B00FF 00020000
	s_and_b32 s21, s21, 0xffff                                 // 000000002B7C: 8615FF15 0000FFFF
	s_and_b32 s25, s25, 0xffff                                 // 000000002B84: 8619FF19 0000FFFF
	s_and_b32 s29, s29, 0xffff                                 // 000000002B8C: 861DFF1D 0000FFFF
	s_and_b32 s33, s33, 0xffff                                 // 000000002B94: 8621FF21 0000FFFF
	s_and_b32 s13, s13, 0xffff                                 // 000000002B9C: 860DFF0D 0000FFFF
	s_and_b32 s37, s37, 0xffff                                 // 000000002BA4: 8625FF25 0000FFFF
	s_or_b32 s21, s21, 0x40000                                 // 000000002BAC: 8715FF15 00040000
	s_or_b32 s25, s25, 0x40000                                 // 000000002BB4: 8719FF19 00040000
	s_or_b32 s29, s29, 0x40000                                 // 000000002BBC: 871DFF1D 00040000
	s_or_b32 s33, s33, 0x40000                                 // 000000002BC4: 8721FF21 00040000
	s_or_b32 s13, s13, 0x40000                                 // 000000002BCC: 870DFF0D 00040000
	s_or_b32 s37, s37, 0x40000                                 // 000000002BD4: 8725FF25 00040000
	v_accvgpr_write_b32 a95, 0                                 // 000000002BDC: D3D9405F 18000080
	v_mov_b32_e32 v107, 0                                      // 000000002BE4: 7ED60280
	s_waitcnt lgkmcnt(0)                                       // 000000002BE8: BF8CC07F
	s_mul_i32 s60, s3, 32                                      // 000000002BEC: 923CA003
	s_cmp_lt_i32 s60, s48                                      // 000000002BF0: BF04303C
	s_cbranch_scc0 label_149E                                  // 000000002BF4: BF84141D
	s_mov_b32 s80, 0                                           // 000000002BF8: BED00080
	s_lshr_b32 s81, s64, s88                                   // 000000002BFC: 8F515840
	s_mul_i32 s60, s3, 4                                       // 000000002C00: 923C8403
	s_add_u32 s44, s60, s44                                    // 000000002C04: 802C2C3C
	s_addc_u32 s45, 0, s45                                     // 000000002C08: 822D2D80
	s_load_dword s5, s[44:45], 0x0                             // 000000002C0C: C0020156 00000000
	s_mul_i32 s60, s3, 32                                      // 000000002C14: 923CA003
	s_mul_i32 s60, 4, s60                                      // 000000002C18: 923C3C84
	s_add_u32 s12, s60, s12                                    // 000000002C1C: 800C0C3C
	s_addc_u32 s13, 0, s13                                     // 000000002C20: 820D0D80
	v_and_b32_e32 v4, 15, v0                                   // 000000002C24: 2608008F
	v_lshlrev_b32_e32 v4, 2, v4                                // 000000002C28: 24080882
	buffer_load_dword v28, v4, s[12:15], 0 offen               // 000000002C2C: E0501000 80031C04
	v_add_u32_e32 v4, 64, v4                                   // 000000002C34: 680808C0
	buffer_load_dword v29, v4, s[12:15], 0 offen               // 000000002C38: E0501000 80031D04
	v_add_u32_e32 v4, 64, v4                                   // 000000002C40: 680808C0
	s_mul_i32 s60, 4, s7                                       // 000000002C44: 923C0784
	v_lshlrev_b32_e32 v4, 4, v0                                // 000000002C48: 24080084
	v_add_u32_e32 v4, s60, v4                                  // 000000002C4C: 6808083C
	buffer_load_dword v3, v4, s[12:15], 0 offen                // 000000002C50: E0501000 80030304
	v_mov_b32_e32 v44, 0                                       // 000000002C58: 7E580280
	v_mov_b32_e32 v76, 0                                       // 000000002C5C: 7E980280
	v_mov_b32_e32 v45, 0                                       // 000000002C60: 7E5A0280
	v_mov_b32_e32 v77, 0                                       // 000000002C64: 7E9A0280
	v_mov_b32_e32 v46, 0                                       // 000000002C68: 7E5C0280
	v_mov_b32_e32 v78, 0                                       // 000000002C6C: 7E9C0280
	v_mov_b32_e32 v47, 0                                       // 000000002C70: 7E5E0280
	v_mov_b32_e32 v79, 0                                       // 000000002C74: 7E9E0280
	v_mov_b32_e32 v48, 0                                       // 000000002C78: 7E600280
	v_mov_b32_e32 v80, 0                                       // 000000002C7C: 7EA00280
	v_mov_b32_e32 v49, 0                                       // 000000002C80: 7E620280
	v_mov_b32_e32 v81, 0                                       // 000000002C84: 7EA20280
	v_mov_b32_e32 v50, 0                                       // 000000002C88: 7E640280
	v_mov_b32_e32 v82, 0                                       // 000000002C8C: 7EA40280
	v_mov_b32_e32 v51, 0                                       // 000000002C90: 7E660280
	v_mov_b32_e32 v83, 0                                       // 000000002C94: 7EA60280
	v_mov_b32_e32 v52, 0                                       // 000000002C98: 7E680280
	v_mov_b32_e32 v84, 0                                       // 000000002C9C: 7EA80280
	v_mov_b32_e32 v53, 0                                       // 000000002CA0: 7E6A0280
	v_mov_b32_e32 v85, 0                                       // 000000002CA4: 7EAA0280
	v_mov_b32_e32 v54, 0                                       // 000000002CA8: 7E6C0280
	v_mov_b32_e32 v86, 0                                       // 000000002CAC: 7EAC0280
	v_mov_b32_e32 v55, 0                                       // 000000002CB0: 7E6E0280
	v_mov_b32_e32 v87, 0                                       // 000000002CB4: 7EAE0280
	v_mov_b32_e32 v56, 0                                       // 000000002CB8: 7E700280
	v_mov_b32_e32 v88, 0                                       // 000000002CBC: 7EB00280
	v_mov_b32_e32 v57, 0                                       // 000000002CC0: 7E720280
	v_mov_b32_e32 v89, 0                                       // 000000002CC4: 7EB20280
	v_mov_b32_e32 v58, 0                                       // 000000002CC8: 7E740280
	v_mov_b32_e32 v90, 0                                       // 000000002CCC: 7EB40280
	v_mov_b32_e32 v59, 0                                       // 000000002CD0: 7E760280
	v_mov_b32_e32 v91, 0                                       // 000000002CD4: 7EB60280
	v_mov_b32_e32 v60, 0                                       // 000000002CD8: 7E780280
	v_mov_b32_e32 v92, 0                                       // 000000002CDC: 7EB80280
	v_mov_b32_e32 v61, 0                                       // 000000002CE0: 7E7A0280
	v_mov_b32_e32 v93, 0                                       // 000000002CE4: 7EBA0280
	v_mov_b32_e32 v62, 0                                       // 000000002CE8: 7E7C0280
	v_mov_b32_e32 v94, 0                                       // 000000002CEC: 7EBC0280
	v_mov_b32_e32 v63, 0                                       // 000000002CF0: 7E7E0280
	v_mov_b32_e32 v95, 0                                       // 000000002CF4: 7EBE0280
	v_mov_b32_e32 v64, 0                                       // 000000002CF8: 7E800280
	v_mov_b32_e32 v96, 0                                       // 000000002CFC: 7EC00280
	v_mov_b32_e32 v65, 0                                       // 000000002D00: 7E820280
	v_mov_b32_e32 v97, 0                                       // 000000002D04: 7EC20280
	v_mov_b32_e32 v66, 0                                       // 000000002D08: 7E840280
	v_mov_b32_e32 v98, 0                                       // 000000002D0C: 7EC40280
	v_mov_b32_e32 v67, 0                                       // 000000002D10: 7E860280
	v_mov_b32_e32 v99, 0                                       // 000000002D14: 7EC60280
	v_mov_b32_e32 v68, 0                                       // 000000002D18: 7E880280
	v_mov_b32_e32 v100, 0                                      // 000000002D1C: 7EC80280
	v_mov_b32_e32 v69, 0                                       // 000000002D20: 7E8A0280
	v_mov_b32_e32 v101, 0                                      // 000000002D24: 7ECA0280
	v_mov_b32_e32 v70, 0                                       // 000000002D28: 7E8C0280
	v_mov_b32_e32 v102, 0                                      // 000000002D2C: 7ECC0280
	v_mov_b32_e32 v71, 0                                       // 000000002D30: 7E8E0280
	v_mov_b32_e32 v103, 0                                      // 000000002D34: 7ECE0280
	v_mov_b32_e32 v72, 0                                       // 000000002D38: 7E900280
	v_mov_b32_e32 v104, 0                                      // 000000002D3C: 7ED00280
	v_mov_b32_e32 v73, 0                                       // 000000002D40: 7E920280
	v_mov_b32_e32 v105, 0                                      // 000000002D44: 7ED20280
	v_mov_b32_e32 v74, 0                                       // 000000002D48: 7E940280
	v_mov_b32_e32 v106, 0                                      // 000000002D4C: 7ED40280
	v_mov_b32_e32 v75, 0                                       // 000000002D50: 7E960280
	v_mov_b32_e32 v107, 0                                      // 000000002D54: 7ED60280
	s_mul_i32 s60, s2, 0x200                                   // 000000002D58: 923CFF02 00000200
	s_cmp_eq_u32 s88, 0                                        // 000000002D60: BF068058
	s_cselect_b32 s61, 1, 2                                    // 000000002D64: 853D8281
	s_mul_i32 s60, s60, s61                                    // 000000002D68: 923C3D3C
	s_mov_b32 s90, s8                                          // 000000002D6C: BEDA0008
	s_mov_b32 s91, s9                                          // 000000002D70: BEDB0009
	s_add_u32 s8, s60, s8                                      // 000000002D74: 8008083C
	s_addc_u32 s9, 0, s9                                       // 000000002D78: 82090980
	v_lshrrev_b32_e32 v4, 4, v0                                // 000000002D7C: 20080084
	v_mul_lo_u32 v20, 34, v4                                   // 000000002D80: D2850014 000208A2
	v_and_b32_e32 v4, 15, v0                                   // 000000002D88: 2608008F
	v_mul_lo_u32 v5, 2, v4                                     // 000000002D8C: D2850005 00020882
	v_add_u32_e32 v20, v5, v20                                 // 000000002D94: 68282905
	s_mul_i32 s60, s7, 0x88                                    // 000000002D98: 923CFF07 00000088
	v_add_u32_e32 v20, s60, v20                                // 000000002DA0: 6828283C
	v_lshlrev_b32_e32 v20, 2, v20                              // 000000002DA4: 24282882
	v_and_b32_e32 v4, 31, v0                                   // 000000002DA8: 2608009F
	v_lshrrev_b32_e32 v4, 1, v4                                // 000000002DAC: 20080881
	v_mul_lo_u32 v21, 34, v4                                   // 000000002DB0: D2850015 000208A2
	v_lshrrev_b32_e32 v4, 5, v0                                // 000000002DB8: 20080085
	v_mul_lo_u32 v4, 8, v4                                     // 000000002DBC: D2850004 00020888
	v_add_u32_e32 v21, v21, v4                                 // 000000002DC4: 682A0915
	v_and_b32_e32 v5, 1, v0                                    // 000000002DC8: 260A0081
	v_add_u32_e32 v21, v5, v21                                 // 000000002DCC: 682A2B05
	s_mul_i32 s60, s7, 2                                       // 000000002DD0: 923C8207
	v_add_u32_e32 v21, s60, v21                                // 000000002DD4: 682A2A3C
	v_lshlrev_b32_e32 v21, 2, v21                              // 000000002DD8: 242A2A82
	s_mul_i32 s60, s7, 0x420                                   // 000000002DDC: 923CFF07 00000420
	s_add_u32 s48, 0, s60                                      // 000000002DE4: 80303C80
	s_add_u32 s49, 0x1080, s48                                 // 000000002DE8: 803130FF 00001080
	v_lshrrev_b32_e32 v4, 4, v0                                // 000000002DF0: 20080084
	v_lshlrev_b32_e32 v5, 2, v4                                // 000000002DF4: 240A0882
	v_and_b32_e32 v4, 15, v0                                   // 000000002DF8: 2608008F
	v_lshrrev_b32_e32 v6, 2, v4                                // 000000002DFC: 200C0882
	v_lshlrev_b32_e32 v6, 5, v6                                // 000000002E00: 240C0C85
	v_add_u32_e32 v5, v6, v5                                   // 000000002E04: 680A0B06
	v_and_b32_e32 v4, 3, v0                                    // 000000002E08: 26080083
	v_mul_u32_u24_e32 v6, 0x108, v4                            // 000000002E0C: 100C08FF 00000108
	v_add_u32_e32 v5, v6, v5                                   // 000000002E14: 680A0B06
	v_lshlrev_b32_e32 v2, 2, v5                                // 000000002E18: 24040A82
	s_waitcnt lgkmcnt(0)                                       // 000000002E1C: BF8CC07F
	s_mul_i32 s60, s2, 0x100                                   // 000000002E20: 923CFF02 00000100
	s_mul_i32 s60, s60, s69                                    // 000000002E28: 923C453C
	s_mul_i32 s61, s5, s72                                     // 000000002E2C: 923D4805
	s_add_u32 s60, s61, s60                                    // 000000002E30: 803C3C3D
	s_add_u32 s24, s60, s24                                    // 000000002E34: 8018183C
	s_addc_u32 s25, 0, s25                                     // 000000002E38: 82191980
	s_lshr_b32 s60, s64, s88                                   // 000000002E3C: 8F3C5840
	s_mul_i32 s60, s4, s60                                     // 000000002E40: 923C3C04
	s_lshr_b32 s60, s60, 7                                     // 000000002E44: 8F3C873C
	s_mul_i32 s60, s60, 0x800                                  // 000000002E48: 923CFF3C 00000800
	s_add_u32 s24, s60, s24                                    // 000000002E50: 8018183C
	s_addc_u32 s25, 0, s25                                     // 000000002E54: 82191980
	s_lshr_b32 s60, s69, s88                                   // 000000002E58: 8F3C5845
	s_mul_i32 s60, s4, s60                                     // 000000002E5C: 923C3C04
	s_add_u32 s20, s60, s20                                    // 000000002E60: 8014143C
	s_addc_u32 s21, 0, s21                                     // 000000002E64: 82151580
	s_mul_i32 s60, s7, 16                                      // 000000002E68: 923C9007
	s_mul_i32 s60, s60, s69                                    // 000000002E6C: 923C453C
	v_lshlrev_b32_e32 v40, 4, v0                               // 000000002E70: 24500084
	v_add_u32_e32 v40, s60, v40                                // 000000002E74: 6850503C
	s_mul_i32 s60, 64, s69                                     // 000000002E78: 923C45C0
	v_add_u32_e32 v41, s60, v40                                // 000000002E7C: 6852503C
	v_add_u32_e32 v42, s60, v41                                // 000000002E80: 6854523C
	v_add_u32_e32 v43, s60, v42                                // 000000002E84: 6856543C
	s_mov_b32 s84, s24                                         // 000000002E88: BED40018
	s_mov_b32 s85, s25                                         // 000000002E8C: BED50019
	s_mov_b32 s86, s26                                         // 000000002E90: BED6001A
	s_mov_b32 s87, s27                                         // 000000002E94: BED7001B
	s_mul_i32 s60, s69, s65                                    // 000000002E98: 923C4145
	s_add_u32 s84, s60, s84                                    // 000000002E9C: 8054543C
	s_addc_u32 s85, 0, s85                                     // 000000002EA0: 82555580
	v_lshrrev_b32_e32 v4, 4, v0                                // 000000002EA4: 20080084
	v_lshlrev_b32_e32 v5, 2, v4                                // 000000002EA8: 240A0882
	v_and_b32_e32 v4, 15, v0                                   // 000000002EAC: 2608008F
	v_lshrrev_b32_e32 v6, 2, v4                                // 000000002EB0: 200C0882
	v_lshlrev_b32_e32 v6, 6, v6                                // 000000002EB4: 240C0C86
	v_add_u32_e32 v5, v6, v5                                   // 000000002EB8: 680A0B06
	v_and_b32_e32 v4, 3, v0                                    // 000000002EBC: 26080083
	v_add_u32_e32 v5, v4, v5                                   // 000000002EC0: 680A0B04
	v_lshlrev_b32_e32 v22, 2, v5                               // 000000002EC4: 242C0A82
	s_mul_i32 s60, s7, 16                                      // 000000002EC8: 923C9007
	s_mul_i32 s60, s60, 4                                      // 000000002ECC: 923C843C
	v_add_u32_e32 v22, s60, v22                                // 000000002ED0: 682C2C3C
	s_mul_i32 s60, s2, 0x100                                   // 000000002ED4: 923CFF02 00000100
	s_mul_i32 s60, s60, 4                                      // 000000002EDC: 923C843C
	s_mul_i32 s61, s5, s74                                     // 000000002EE0: 923D4A05
	s_add_u32 s61, s61, s60                                    // 000000002EE4: 803D3C3D
	s_add_u32 s32, s61, s32                                    // 000000002EE8: 8020203D
	s_addc_u32 s33, 0, s33                                     // 000000002EEC: 82212180
	s_mov_b32 s57, 0x80                                        // 000000002EF0: BEB900FF 00000080
	s_mov_b32 s58, 0x800                                       // 000000002EF8: BEBA00FF 00000800
	s_mov_b32 s83, s58                                         // 000000002F00: BED3003A
	s_mov_b32 s52, 0x7060302                                   // 000000002F04: BEB400FF 07060302
	s_mov_b32 s53, 0x400                                       // 000000002F0C: BEB500FF 00000400
	s_mov_b32 s54, 0x40100                                     // 000000002F14: BEB600FF 00040100
	s_mov_b32 s55, 0x4020100                                   // 000000002F1C: BEB700FF 04020100
	s_mov_b32 s6, 0x3fb8aa3b                                   // 000000002F24: BE8600FF 3FB8AA3B
	s_mov_b32 s78, 0xbd92220c                                  // 000000002F2C: BECE00FF BD92220C
	s_mov_b32 s79, 0xbd92220c                                  // 000000002F34: BECF00FF BD92220C
	s_mov_b32 m0, s48                                          // 000000002F3C: BEFC0030
	v_mov_b32_e32 v1, 0xbfcc4231                               // 000000002F40: 7E0202FF BFCC4231
	v_mov_b32_e32 v17, 0xffff0000                              // 000000002F48: 7E2202FF FFFF0000
	v_mov_b32_e32 v18, 0x7fff0000                              // 000000002F50: 7E2402FF 7FFF0000
	v_mov_b32_e32 v19, 0x7fff                                  // 000000002F58: 7E2602FF 00007FFF
	s_waitcnt vmcnt(0) expcnt(0) lgkmcnt(0)                    // 000000002F60: BF8C0000
	v_lshrrev_b32_e32 v4, 5, v0                                // 000000002F64: 20080085
	v_xor_b32_e32 v5, 1, v4                                    // 000000002F68: 2A0A0881
	v_readlane_b32 s82, v3, 0                                  // 000000002F6C: D2890052 00010103
	s_and_b32 s82, s82, 0xffffff                               // 000000002F74: 8652FF52 00FFFFFF
	v_mul_lo_u32 v6, v5, s82                                   // 000000002F7C: D2850006 0000A505
	v_readlane_b32 s82, v3, 1                                  // 000000002F84: D2890052 00010303
	s_and_b32 s82, s82, 0xffffff                               // 000000002F8C: 8652FF52 00FFFFFF
	v_mul_lo_u32 v7, v4, s82                                   // 000000002F94: D2850007 0000A504
	v_add_u32_e32 v36, v6, v7                                  // 000000002F9C: 68480F06
	v_mul_lo_u32 v36, v36, s68                                 // 000000002FA0: D2850024 00008924
	v_readlane_b32 s82, v3, 2                                  // 000000002FA8: D2890052 00010503
	s_and_b32 s82, s82, 0xffffff                               // 000000002FB0: 8652FF52 00FFFFFF
	v_mul_lo_u32 v6, v5, s82                                   // 000000002FB8: D2850006 0000A505
	v_readlane_b32 s82, v3, 3                                  // 000000002FC0: D2890052 00010703
	s_and_b32 s82, s82, 0xffffff                               // 000000002FC8: 8652FF52 00FFFFFF
	v_mul_lo_u32 v7, v4, s82                                   // 000000002FD0: D2850007 0000A504
	v_add_u32_e32 v37, v6, v7                                  // 000000002FD8: 684A0F06
	v_mul_lo_u32 v37, v37, s68                                 // 000000002FDC: D2850025 00008925
	v_readlane_b32 s82, v3, 4                                  // 000000002FE4: D2890052 00010903
	s_and_b32 s82, s82, 0xffffff                               // 000000002FEC: 8652FF52 00FFFFFF
	v_mul_lo_u32 v6, v5, s82                                   // 000000002FF4: D2850006 0000A505
	v_readlane_b32 s82, v3, 5                                  // 000000002FFC: D2890052 00010B03
	s_and_b32 s82, s82, 0xffffff                               // 000000003004: 8652FF52 00FFFFFF
	v_mul_lo_u32 v7, v4, s82                                   // 00000000300C: D2850007 0000A504
	v_add_u32_e32 v38, v6, v7                                  // 000000003014: 684C0F06
	v_mul_lo_u32 v38, v38, s68                                 // 000000003018: D2850026 00008926
	v_readlane_b32 s82, v3, 6                                  // 000000003020: D2890052 00010D03
	s_and_b32 s82, s82, 0xffffff                               // 000000003028: 8652FF52 00FFFFFF
	v_mul_lo_u32 v6, v5, s82                                   // 000000003030: D2850006 0000A505
	v_readlane_b32 s82, v3, 7                                  // 000000003038: D2890052 00010F03
	s_and_b32 s82, s82, 0xffffff                               // 000000003040: 8652FF52 00FFFFFF
	v_mul_lo_u32 v7, v4, s82                                   // 000000003048: D2850007 0000A504
	v_add_u32_e32 v39, v6, v7                                  // 000000003050: 684E0F06
	v_mul_lo_u32 v39, v39, s68                                 // 000000003054: D2850027 00008927
	v_and_b32_e32 v4, 31, v0                                   // 00000000305C: 2608009F
	v_lshlrev_b32_e32 v4, 2, v4                                // 000000003060: 24080882
	v_add_u32_e32 v36, v36, v4                                 // 000000003064: 68480924
	v_add_u32_e32 v37, v37, v4                                 // 000000003068: 684A0925
	v_add_u32_e32 v38, v38, v4                                 // 00000000306C: 684C0926
	v_add_u32_e32 v39, v39, v4                                 // 000000003070: 684E0927
	v_and_b32_e32 v28, 0xffffff, v28                           // 000000003074: 263838FF 00FFFFFF
	v_lshlrev_b32_e32 v28, 2, v28                              // 00000000307C: 24383882
	v_and_b32_e32 v29, 0xffffff, v29                           // 000000003080: 263A3AFF 00FFFFFF
	v_lshlrev_b32_e32 v29, 2, v29                              // 000000003088: 243A3A82
	s_lshl_b32 s3, s66, 2                                      // 00000000308C: 8E038242
	buffer_load_dword v30, v28, s[28:31], 0 offen              // 000000003090: E0501000 80071E1C
	buffer_load_dword v31, v29, s[28:31], 0 offen              // 000000003098: E0501000 80071F1D
	buffer_load_dword v24, v22, s[32:35], 0 offen              // 0000000030A0: E0501000 80081816
	s_mul_i32 s60, 4, s65                                      // 0000000030A8: 923C4184
	s_add_u32 s32, s60, s32                                    // 0000000030AC: 8020203C
	s_addc_u32 s33, 0, s33                                     // 0000000030B0: 82212180
	buffer_load_dword v26, v22, s[32:35], 0 offen              // 0000000030B4: E0501000 80081A16
	buffer_load_dword v36, s[20:23], 0 offen lds               // 0000000030BC: E0511000 80050024
	s_add_u32 m0, 0x100, s48                                   // 0000000030C4: 807C30FF 00000100
	buffer_load_dword v37, s[20:23], 0 offen lds               // 0000000030CC: E0511000 80050025
	s_add_u32 m0, 0x200, s48                                   // 0000000030D4: 807C30FF 00000200
	buffer_load_dword v38, s[20:23], 0 offen lds               // 0000000030DC: E0511000 80050026
	s_add_u32 m0, 0x300, s48                                   // 0000000030E4: 807C30FF 00000300
	buffer_load_dword v39, s[20:23], 0 offen lds               // 0000000030EC: E0511000 80050027
	s_add_u32 m0, 0, s49                                       // 0000000030F4: 807C3180
	s_add_u32 s20, s57, s20                                    // 0000000030F8: 80141439
	s_addc_u32 s21, 0, s21                                     // 0000000030FC: 82151580
	buffer_load_dword v36, s[20:23], 0 offen lds               // 000000003100: E0511000 80050024
	s_add_u32 m0, 0x100, s49                                   // 000000003108: 807C31FF 00000100
	buffer_load_dword v37, s[20:23], 0 offen lds               // 000000003110: E0511000 80050025
	s_add_u32 m0, 0x200, s49                                   // 000000003118: 807C31FF 00000200
	;; [unrolled: 2-line block ×3, first 2 shown]
	buffer_load_dword v39, s[20:23], 0 offen lds               // 000000003130: E0511000 80050027
	s_add_u32 m0, 0, s48                                       // 000000003138: 807C3080
	s_add_u32 s20, s57, s20                                    // 00000000313C: 80141439
	s_addc_u32 s21, 0, s21                                     // 000000003140: 82151580
	buffer_load_dwordx4 a[32:35], v40, s[24:27], 0 offen       // 000000003144: E05C1000 80862028
	buffer_load_dwordx4 a[36:39], v40, s[24:27], 0 offen offset:1024// 00000000314C: E05C1400 80862428
	buffer_load_dwordx4 a[40:43], v41, s[24:27], 0 offen       // 000000003154: E05C1000 80862829
	buffer_load_dwordx4 a[44:47], v41, s[24:27], 0 offen offset:1024// 00000000315C: E05C1400 80862C29
	buffer_load_dwordx4 a[48:51], v42, s[24:27], 0 offen       // 000000003164: E05C1000 8086302A
	buffer_load_dwordx4 a[52:55], v42, s[24:27], 0 offen offset:1024// 00000000316C: E05C1400 8086342A
	buffer_load_dwordx4 a[56:59], v43, s[24:27], 0 offen       // 000000003174: E05C1000 8086382B
	buffer_load_dwordx4 a[60:63], v43, s[24:27], 0 offen offset:1024// 00000000317C: E05C1400 80863C2B
	s_add_u32 s24, s58, s24                                    // 000000003184: 8018183A
	s_addc_u32 s25, 0, s25                                     // 000000003188: 82191980
	s_waitcnt vmcnt(12)                                        // 00000000318C: BF8C0F7C
	s_barrier                                                  // 000000003190: BF8A0000
	ds_read_b128 a[0:3], v2                                    // 000000003194: DBFE0000 00000002
	ds_read_b128 a[4:7], v2 offset:64                          // 00000000319C: DBFE0040 04000002
	ds_read_b128 a[8:11], v2 offset:512                        // 0000000031A4: DBFE0200 08000002
	ds_read_b128 a[12:15], v2 offset:576                       // 0000000031AC: DBFE0240 0C000002
	s_cmp_lt_i32 s7, 2                                         // 0000000031B4: BF048207
	s_cbranch_scc0 label_0B48                                  // 0000000031B8: BF840956

00000000000031bc <label_01EF>:
	s_waitcnt vmcnt(6) lgkmcnt(0)                              // 0000000031BC: BF8C0076
	s_barrier                                                  // 0000000031C0: BF8A0000
	v_mfma_f32_16x16x32_fp8_fp8 v[44:47], a[32:33], a[0:1], v[44:47]// 0000000031C4: D3F3002C 1CB20120
	v_mfma_f32_16x16x32_fp8_fp8 v[44:47], a[34:35], a[2:3], v[44:47]// 0000000031CC: D3F3002C 1CB20522
	buffer_load_dwordx4 a[64:67], v40, s[84:87], 0 offen       // 0000000031D4: E05C1000 80954028
	v_mfma_f32_16x16x32_fp8_fp8 v[44:47], a[36:37], a[4:5], v[44:47]// 0000000031DC: D3F3002C 1CB20924
	v_mfma_f32_16x16x32_fp8_fp8 v[44:47], a[38:39], a[6:7], v[44:47]// 0000000031E4: D3F3002C 1CB20D26
	v_mfma_f32_16x16x32_fp8_fp8 v[48:51], a[32:33], a[8:9], v[48:51]// 0000000031EC: D3F30030 1CC21120
	v_mfma_f32_16x16x32_fp8_fp8 v[48:51], a[34:35], a[10:11], v[48:51]// 0000000031F4: D3F30030 1CC21522
	buffer_load_dwordx4 a[68:71], v40, s[84:87], 0 offen offset:1024// 0000000031FC: E05C1400 80954428
	v_mfma_f32_16x16x32_fp8_fp8 v[48:51], a[36:37], a[12:13], v[48:51]// 000000003204: D3F30030 1CC21924
	v_mfma_f32_16x16x32_fp8_fp8 v[48:51], a[38:39], a[14:15], v[48:51]// 00000000320C: D3F30030 1CC21D26
	s_waitcnt vmcnt(6)                                         // 000000003214: BF8C0F76
	v_mfma_f32_16x16x32_fp8_fp8 v[52:55], a[40:41], a[0:1], v[52:55]// 000000003218: D3F30034 1CD20128
	v_mfma_f32_16x16x32_fp8_fp8 v[52:55], a[42:43], a[2:3], v[52:55]// 000000003220: D3F30034 1CD2052A
	buffer_load_dwordx4 a[72:75], v41, s[84:87], 0 offen       // 000000003228: E05C1000 80954829
	v_mfma_f32_16x16x32_fp8_fp8 v[52:55], a[44:45], a[4:5], v[52:55]// 000000003230: D3F30034 1CD2092C
	v_mfma_f32_16x16x32_fp8_fp8 v[52:55], a[46:47], a[6:7], v[52:55]// 000000003238: D3F30034 1CD20D2E
	v_mfma_f32_16x16x32_fp8_fp8 v[56:59], a[40:41], a[8:9], v[56:59]// 000000003240: D3F30038 1CE21128
	v_mfma_f32_16x16x32_fp8_fp8 v[56:59], a[42:43], a[10:11], v[56:59]// 000000003248: D3F30038 1CE2152A
	buffer_load_dwordx4 a[76:79], v41, s[84:87], 0 offen offset:1024// 000000003250: E05C1400 80954C29
	v_mfma_f32_16x16x32_fp8_fp8 v[56:59], a[44:45], a[12:13], v[56:59]// 000000003258: D3F30038 1CE2192C
	v_mfma_f32_16x16x32_fp8_fp8 v[56:59], a[46:47], a[14:15], v[56:59]// 000000003260: D3F30038 1CE21D2E
	s_waitcnt vmcnt(6)                                         // 000000003268: BF8C0F76
	v_mfma_f32_16x16x32_fp8_fp8 v[60:63], a[48:49], a[0:1], v[60:63]// 00000000326C: D3F3003C 1CF20130
	v_mfma_f32_16x16x32_fp8_fp8 v[60:63], a[50:51], a[2:3], v[60:63]// 000000003274: D3F3003C 1CF20532
	buffer_load_dwordx4 a[80:83], v42, s[84:87], 0 offen       // 00000000327C: E05C1000 8095502A
	v_mfma_f32_16x16x32_fp8_fp8 v[60:63], a[52:53], a[4:5], v[60:63]// 000000003284: D3F3003C 1CF20934
	v_mfma_f32_16x16x32_fp8_fp8 v[60:63], a[54:55], a[6:7], v[60:63]// 00000000328C: D3F3003C 1CF20D36
	v_mfma_f32_16x16x32_fp8_fp8 v[64:67], a[48:49], a[8:9], v[64:67]// 000000003294: D3F30040 1D021130
	v_mfma_f32_16x16x32_fp8_fp8 v[64:67], a[50:51], a[10:11], v[64:67]// 00000000329C: D3F30040 1D021532
	buffer_load_dwordx4 a[84:87], v42, s[84:87], 0 offen offset:1024// 0000000032A4: E05C1400 8095542A
	v_mfma_f32_16x16x32_fp8_fp8 v[64:67], a[52:53], a[12:13], v[64:67]// 0000000032AC: D3F30040 1D021934
	v_mfma_f32_16x16x32_fp8_fp8 v[64:67], a[54:55], a[14:15], v[64:67]// 0000000032B4: D3F30040 1D021D36
	s_waitcnt vmcnt(6)                                         // 0000000032BC: BF8C0F76
	v_mfma_f32_16x16x32_fp8_fp8 v[68:71], a[56:57], a[0:1], v[68:71]// 0000000032C0: D3F30044 1D120138
	v_mfma_f32_16x16x32_fp8_fp8 v[68:71], a[58:59], a[2:3], v[68:71]// 0000000032C8: D3F30044 1D12053A
	buffer_load_dwordx4 a[88:91], v43, s[84:87], 0 offen       // 0000000032D0: E05C1000 8095582B
	v_mfma_f32_16x16x32_fp8_fp8 v[68:71], a[60:61], a[4:5], v[68:71]// 0000000032D8: D3F30044 1D12093C
	v_mfma_f32_16x16x32_fp8_fp8 v[68:71], a[62:63], a[6:7], v[68:71]// 0000000032E0: D3F30044 1D120D3E
	v_mfma_f32_16x16x32_fp8_fp8 v[72:75], a[56:57], a[8:9], v[72:75]// 0000000032E8: D3F30048 1D221138
	v_mfma_f32_16x16x32_fp8_fp8 v[72:75], a[58:59], a[10:11], v[72:75]// 0000000032F0: D3F30048 1D22153A
	buffer_load_dwordx4 a[92:95], v43, s[84:87], 0 offen offset:1024// 0000000032F8: E05C1400 80955C2B
	buffer_load_dword v36, s[20:23], 0 offen lds               // 000000003300: E0511000 80050024
	s_add_u32 m0, 0x100, s48                                   // 000000003308: 807C30FF 00000100
	s_add_u32 s60, 0x80, s80                                   // 000000003310: 803C50FF 00000080
	s_cmp_lt_u32 s60, s81                                      // 000000003318: BF0A513C
	s_cselect_b32 s83, s83, 0                                  // 00000000331C: 85538053
	v_mfma_f32_16x16x32_fp8_fp8 v[72:75], a[60:61], a[12:13], v[72:75]// 000000003320: D3F30048 1D22193C
	v_mfma_f32_16x16x32_fp8_fp8 v[72:75], a[62:63], a[14:15], v[72:75]// 000000003328: D3F30048 1D221D3E
	buffer_load_dword v37, s[20:23], 0 offen lds               // 000000003330: E0511000 80050025
	s_add_u32 m0, 0x200, s48                                   // 000000003338: 807C30FF 00000200
	buffer_load_dword v38, s[20:23], 0 offen lds               // 000000003340: E0511000 80050026
	s_add_u32 m0, 0x300, s48                                   // 000000003348: 807C30FF 00000300
	buffer_load_dword v39, s[20:23], 0 offen lds               // 000000003350: E0511000 80050027
	s_add_u32 m0, 0, s49                                       // 000000003358: 807C3180
	s_waitcnt vmcnt(4)                                         // 00000000335C: BF8C0F74
	v_mfma_f32_16x16x32_fp8_fp8 v[76:79], a[64:65], a[0:1], v[76:79]// 000000003360: D3F3004C 1D320140
	v_mfma_f32_16x16x32_fp8_fp8 v[76:79], a[66:67], a[2:3], v[76:79]// 000000003368: D3F3004C 1D320542
	buffer_load_dwordx4 a[32:35], v40, s[24:27], 0 offen       // 000000003370: E05C1000 80862028
	v_mfma_f32_16x16x32_fp8_fp8 v[76:79], a[68:69], a[4:5], v[76:79]// 000000003378: D3F3004C 1D320944
	v_mfma_f32_16x16x32_fp8_fp8 v[76:79], a[70:71], a[6:7], v[76:79]// 000000003380: D3F3004C 1D320D46
	ds_read_b128 a[16:19], v2 offset:4224                      // 000000003388: DBFE1080 10000002
	ds_read_b128 a[20:23], v2 offset:4288                      // 000000003390: DBFE10C0 14000002
	v_mfma_f32_16x16x32_fp8_fp8 v[84:87], a[72:73], a[0:1], v[84:87]// 000000003398: D3F30054 1D520148
	v_mfma_f32_16x16x32_fp8_fp8 v[84:87], a[74:75], a[2:3], v[84:87]// 0000000033A0: D3F30054 1D52054A
	buffer_load_dwordx4 a[36:39], v40, s[24:27], 0 offen offset:1024// 0000000033A8: E05C1400 80862428
	v_mfma_f32_16x16x32_fp8_fp8 v[84:87], a[76:77], a[4:5], v[84:87]// 0000000033B0: D3F30054 1D52094C
	v_mfma_f32_16x16x32_fp8_fp8 v[84:87], a[78:79], a[6:7], v[84:87]// 0000000033B8: D3F30054 1D520D4E
	ds_read_b128 a[24:27], v2 offset:4736                      // 0000000033C0: DBFE1280 18000002
	ds_read_b128 a[28:31], v2 offset:4800                      // 0000000033C8: DBFE12C0 1C000002
	v_mfma_f32_16x16x32_fp8_fp8 v[92:95], a[80:81], a[0:1], v[92:95]// 0000000033D0: D3F3005C 1D720150
	v_mfma_f32_16x16x32_fp8_fp8 v[92:95], a[82:83], a[2:3], v[92:95]// 0000000033D8: D3F3005C 1D720552
	buffer_load_dwordx4 a[40:43], v41, s[24:27], 0 offen       // 0000000033E0: E05C1000 80862829
	v_mfma_f32_16x16x32_fp8_fp8 v[92:95], a[84:85], a[4:5], v[92:95]// 0000000033E8: D3F3005C 1D720954
	v_mfma_f32_16x16x32_fp8_fp8 v[92:95], a[86:87], a[6:7], v[92:95]// 0000000033F0: D3F3005C 1D720D56
	v_mfma_f32_16x16x32_fp8_fp8 v[100:103], a[88:89], a[0:1], v[100:103]// 0000000033F8: D3F30064 1D920158
	v_mfma_f32_16x16x32_fp8_fp8 v[100:103], a[90:91], a[2:3], v[100:103]// 000000003400: D3F30064 1D92055A
	buffer_load_dwordx4 a[44:47], v41, s[24:27], 0 offen offset:1024// 000000003408: E05C1400 80862C29
	v_mfma_f32_16x16x32_fp8_fp8 v[100:103], a[92:93], a[4:5], v[100:103]// 000000003410: D3F30064 1D92095C
	v_mfma_f32_16x16x32_fp8_fp8 v[100:103], a[94:95], a[6:7], v[100:103]// 000000003418: D3F30064 1D920D5E
	v_mfma_f32_16x16x32_fp8_fp8 v[80:83], a[64:65], a[8:9], v[80:83]// 000000003420: D3F30050 1D421140
	v_mfma_f32_16x16x32_fp8_fp8 v[80:83], a[66:67], a[10:11], v[80:83]// 000000003428: D3F30050 1D421542
	buffer_load_dwordx4 a[48:51], v42, s[24:27], 0 offen       // 000000003430: E05C1000 8086302A
	v_mfma_f32_16x16x32_fp8_fp8 v[80:83], a[68:69], a[12:13], v[80:83]// 000000003438: D3F30050 1D421944
	v_mfma_f32_16x16x32_fp8_fp8 v[80:83], a[70:71], a[14:15], v[80:83]// 000000003440: D3F30050 1D421D46
	v_mfma_f32_16x16x32_fp8_fp8 v[88:91], a[72:73], a[8:9], v[88:91]// 000000003448: D3F30058 1D621148
	v_mfma_f32_16x16x32_fp8_fp8 v[88:91], a[74:75], a[10:11], v[88:91]// 000000003450: D3F30058 1D62154A
	buffer_load_dwordx4 a[52:55], v42, s[24:27], 0 offen offset:1024// 000000003458: E05C1400 8086342A
	v_mfma_f32_16x16x32_fp8_fp8 v[88:91], a[76:77], a[12:13], v[88:91]// 000000003460: D3F30058 1D62194C
	v_mfma_f32_16x16x32_fp8_fp8 v[88:91], a[78:79], a[14:15], v[88:91]// 000000003468: D3F30058 1D621D4E
	v_mfma_f32_16x16x32_fp8_fp8 v[96:99], a[80:81], a[8:9], v[96:99]// 000000003470: D3F30060 1D821150
	v_mfma_f32_16x16x32_fp8_fp8 v[96:99], a[82:83], a[10:11], v[96:99]// 000000003478: D3F30060 1D821552
	buffer_load_dwordx4 a[56:59], v43, s[24:27], 0 offen       // 000000003480: E05C1000 8086382B
	v_mfma_f32_16x16x32_fp8_fp8 v[96:99], a[84:85], a[12:13], v[96:99]// 000000003488: D3F30060 1D821954
	s_add_u32 s60, 0x180, s80                                  // 000000003490: 803C50FF 00000180
	s_cmp_lt_u32 s60, s81                                      // 000000003498: BF0A513C
	s_cselect_b32 s57, s57, 0                                  // 00000000349C: 85398039
	v_mfma_f32_16x16x32_fp8_fp8 v[96:99], a[86:87], a[14:15], v[96:99]// 0000000034A0: D3F30060 1D821D56
	s_add_u32 s60, 0x100, s80                                  // 0000000034A8: 803C50FF 00000100
	s_cmp_lt_u32 s60, s81                                      // 0000000034B0: BF0A513C
	s_cselect_b32 s58, s58, 0                                  // 0000000034B4: 853A803A
	v_mfma_f32_16x16x32_fp8_fp8 v[104:107], a[88:89], a[8:9], v[104:107]// 0000000034B8: D3F30068 1DA21158
	v_mfma_f32_16x16x32_fp8_fp8 v[104:107], a[90:91], a[10:11], v[104:107]// 0000000034C0: D3F30068 1DA2155A
	buffer_load_dwordx4 a[60:63], v43, s[24:27], 0 offen offset:1024// 0000000034C8: E05C1400 80863C2B
	s_add_u32 s20, s57, s20                                    // 0000000034D0: 80141439
	s_addc_u32 s21, 0, s21                                     // 0000000034D4: 82151580
	v_mfma_f32_16x16x32_fp8_fp8 v[104:107], a[92:93], a[12:13], v[104:107]// 0000000034D8: D3F30068 1DA2195C
	s_add_u32 s84, s83, s84                                    // 0000000034E0: 80545453
	s_addc_u32 s85, 0, s85                                     // 0000000034E4: 82555580
	v_mfma_f32_16x16x32_fp8_fp8 v[104:107], a[94:95], a[14:15], v[104:107]// 0000000034E8: D3F30068 1DA21D5E
	s_add_u32 s24, s58, s24                                    // 0000000034F0: 8018183A
	s_addc_u32 s25, 0, s25                                     // 0000000034F4: 82191980
	s_addk_i32 s80, 0x80                                       // 0000000034F8: B7500080
	s_cmp_lt_i32 s80, s81                                      // 0000000034FC: BF045150
	s_cbranch_scc0 label_0394                                  // 000000003500: BF8400D3
	s_waitcnt vmcnt(6) lgkmcnt(0)                              // 000000003504: BF8C0076
	s_barrier                                                  // 000000003508: BF8A0000
	v_mfma_f32_16x16x32_fp8_fp8 v[44:47], a[32:33], a[16:17], v[44:47]// 00000000350C: D3F3002C 1CB22120
	v_mfma_f32_16x16x32_fp8_fp8 v[44:47], a[34:35], a[18:19], v[44:47]// 000000003514: D3F3002C 1CB22522
	buffer_load_dwordx4 a[64:67], v40, s[84:87], 0 offen       // 00000000351C: E05C1000 80954028
	v_mfma_f32_16x16x32_fp8_fp8 v[44:47], a[36:37], a[20:21], v[44:47]// 000000003524: D3F3002C 1CB22924
	v_mfma_f32_16x16x32_fp8_fp8 v[44:47], a[38:39], a[22:23], v[44:47]// 00000000352C: D3F3002C 1CB22D26
	v_mfma_f32_16x16x32_fp8_fp8 v[48:51], a[32:33], a[24:25], v[48:51]// 000000003534: D3F30030 1CC23120
	v_mfma_f32_16x16x32_fp8_fp8 v[48:51], a[34:35], a[26:27], v[48:51]// 00000000353C: D3F30030 1CC23522
	buffer_load_dwordx4 a[68:71], v40, s[84:87], 0 offen offset:1024// 000000003544: E05C1400 80954428
	v_mfma_f32_16x16x32_fp8_fp8 v[48:51], a[36:37], a[28:29], v[48:51]// 00000000354C: D3F30030 1CC23924
	v_mfma_f32_16x16x32_fp8_fp8 v[48:51], a[38:39], a[30:31], v[48:51]// 000000003554: D3F30030 1CC23D26
	s_waitcnt vmcnt(6)                                         // 00000000355C: BF8C0F76
	v_mfma_f32_16x16x32_fp8_fp8 v[52:55], a[40:41], a[16:17], v[52:55]// 000000003560: D3F30034 1CD22128
	v_mfma_f32_16x16x32_fp8_fp8 v[52:55], a[42:43], a[18:19], v[52:55]// 000000003568: D3F30034 1CD2252A
	buffer_load_dwordx4 a[72:75], v41, s[84:87], 0 offen       // 000000003570: E05C1000 80954829
	v_mfma_f32_16x16x32_fp8_fp8 v[52:55], a[44:45], a[20:21], v[52:55]// 000000003578: D3F30034 1CD2292C
	v_mfma_f32_16x16x32_fp8_fp8 v[52:55], a[46:47], a[22:23], v[52:55]// 000000003580: D3F30034 1CD22D2E
	v_mfma_f32_16x16x32_fp8_fp8 v[56:59], a[40:41], a[24:25], v[56:59]// 000000003588: D3F30038 1CE23128
	v_mfma_f32_16x16x32_fp8_fp8 v[56:59], a[42:43], a[26:27], v[56:59]// 000000003590: D3F30038 1CE2352A
	buffer_load_dwordx4 a[76:79], v41, s[84:87], 0 offen offset:1024// 000000003598: E05C1400 80954C29
	v_mfma_f32_16x16x32_fp8_fp8 v[56:59], a[44:45], a[28:29], v[56:59]// 0000000035A0: D3F30038 1CE2392C
	v_mfma_f32_16x16x32_fp8_fp8 v[56:59], a[46:47], a[30:31], v[56:59]// 0000000035A8: D3F30038 1CE23D2E
	s_waitcnt vmcnt(6)                                         // 0000000035B0: BF8C0F76
	v_mfma_f32_16x16x32_fp8_fp8 v[60:63], a[48:49], a[16:17], v[60:63]// 0000000035B4: D3F3003C 1CF22130
	v_mfma_f32_16x16x32_fp8_fp8 v[60:63], a[50:51], a[18:19], v[60:63]// 0000000035BC: D3F3003C 1CF22532
	buffer_load_dwordx4 a[80:83], v42, s[84:87], 0 offen       // 0000000035C4: E05C1000 8095502A
	v_mfma_f32_16x16x32_fp8_fp8 v[60:63], a[52:53], a[20:21], v[60:63]// 0000000035CC: D3F3003C 1CF22934
	v_mfma_f32_16x16x32_fp8_fp8 v[60:63], a[54:55], a[22:23], v[60:63]// 0000000035D4: D3F3003C 1CF22D36
	v_mfma_f32_16x16x32_fp8_fp8 v[64:67], a[48:49], a[24:25], v[64:67]// 0000000035DC: D3F30040 1D023130
	v_mfma_f32_16x16x32_fp8_fp8 v[64:67], a[50:51], a[26:27], v[64:67]// 0000000035E4: D3F30040 1D023532
	buffer_load_dwordx4 a[84:87], v42, s[84:87], 0 offen offset:1024// 0000000035EC: E05C1400 8095542A
	v_mfma_f32_16x16x32_fp8_fp8 v[64:67], a[52:53], a[28:29], v[64:67]// 0000000035F4: D3F30040 1D023934
	v_mfma_f32_16x16x32_fp8_fp8 v[64:67], a[54:55], a[30:31], v[64:67]// 0000000035FC: D3F30040 1D023D36
	s_waitcnt vmcnt(6)                                         // 000000003604: BF8C0F76
	v_mfma_f32_16x16x32_fp8_fp8 v[68:71], a[56:57], a[16:17], v[68:71]// 000000003608: D3F30044 1D122138
	v_mfma_f32_16x16x32_fp8_fp8 v[68:71], a[58:59], a[18:19], v[68:71]// 000000003610: D3F30044 1D12253A
	buffer_load_dwordx4 a[88:91], v43, s[84:87], 0 offen       // 000000003618: E05C1000 8095582B
	v_mfma_f32_16x16x32_fp8_fp8 v[68:71], a[60:61], a[20:21], v[68:71]// 000000003620: D3F30044 1D12293C
	v_mfma_f32_16x16x32_fp8_fp8 v[68:71], a[62:63], a[22:23], v[68:71]// 000000003628: D3F30044 1D122D3E
	v_mfma_f32_16x16x32_fp8_fp8 v[72:75], a[56:57], a[24:25], v[72:75]// 000000003630: D3F30048 1D223138
	v_mfma_f32_16x16x32_fp8_fp8 v[72:75], a[58:59], a[26:27], v[72:75]// 000000003638: D3F30048 1D22353A
	buffer_load_dwordx4 a[92:95], v43, s[84:87], 0 offen offset:1024// 000000003640: E05C1400 80955C2B
	buffer_load_dword v36, s[20:23], 0 offen lds               // 000000003648: E0511000 80050024
	s_add_u32 m0, 0x100, s49                                   // 000000003650: 807C31FF 00000100
	s_add_u32 s60, 0x80, s80                                   // 000000003658: 803C50FF 00000080
	s_cmp_lt_u32 s60, s81                                      // 000000003660: BF0A513C
	s_cselect_b32 s83, s83, 0                                  // 000000003664: 85538053
	v_mfma_f32_16x16x32_fp8_fp8 v[72:75], a[60:61], a[28:29], v[72:75]// 000000003668: D3F30048 1D22393C
	v_mfma_f32_16x16x32_fp8_fp8 v[72:75], a[62:63], a[30:31], v[72:75]// 000000003670: D3F30048 1D223D3E
	buffer_load_dword v37, s[20:23], 0 offen lds               // 000000003678: E0511000 80050025
	s_add_u32 m0, 0x200, s49                                   // 000000003680: 807C31FF 00000200
	buffer_load_dword v38, s[20:23], 0 offen lds               // 000000003688: E0511000 80050026
	s_add_u32 m0, 0x300, s49                                   // 000000003690: 807C31FF 00000300
	buffer_load_dword v39, s[20:23], 0 offen lds               // 000000003698: E0511000 80050027
	s_add_u32 m0, 0, s48                                       // 0000000036A0: 807C3080
	s_waitcnt vmcnt(4)                                         // 0000000036A4: BF8C0F74
	v_mfma_f32_16x16x32_fp8_fp8 v[76:79], a[64:65], a[16:17], v[76:79]// 0000000036A8: D3F3004C 1D322140
	v_mfma_f32_16x16x32_fp8_fp8 v[76:79], a[66:67], a[18:19], v[76:79]// 0000000036B0: D3F3004C 1D322542
	buffer_load_dwordx4 a[32:35], v40, s[24:27], 0 offen       // 0000000036B8: E05C1000 80862028
	v_mfma_f32_16x16x32_fp8_fp8 v[76:79], a[68:69], a[20:21], v[76:79]// 0000000036C0: D3F3004C 1D322944
	v_mfma_f32_16x16x32_fp8_fp8 v[76:79], a[70:71], a[22:23], v[76:79]// 0000000036C8: D3F3004C 1D322D46
	ds_read_b128 a[0:3], v2                                    // 0000000036D0: DBFE0000 00000002
	ds_read_b128 a[4:7], v2 offset:64                          // 0000000036D8: DBFE0040 04000002
	v_mfma_f32_16x16x32_fp8_fp8 v[84:87], a[72:73], a[16:17], v[84:87]// 0000000036E0: D3F30054 1D522148
	v_mfma_f32_16x16x32_fp8_fp8 v[84:87], a[74:75], a[18:19], v[84:87]// 0000000036E8: D3F30054 1D52254A
	buffer_load_dwordx4 a[36:39], v40, s[24:27], 0 offen offset:1024// 0000000036F0: E05C1400 80862428
	v_mfma_f32_16x16x32_fp8_fp8 v[84:87], a[76:77], a[20:21], v[84:87]// 0000000036F8: D3F30054 1D52294C
	v_mfma_f32_16x16x32_fp8_fp8 v[84:87], a[78:79], a[22:23], v[84:87]// 000000003700: D3F30054 1D522D4E
	ds_read_b128 a[8:11], v2 offset:512                        // 000000003708: DBFE0200 08000002
	ds_read_b128 a[12:15], v2 offset:576                       // 000000003710: DBFE0240 0C000002
	v_mfma_f32_16x16x32_fp8_fp8 v[92:95], a[80:81], a[16:17], v[92:95]// 000000003718: D3F3005C 1D722150
	v_mfma_f32_16x16x32_fp8_fp8 v[92:95], a[82:83], a[18:19], v[92:95]// 000000003720: D3F3005C 1D722552
	buffer_load_dwordx4 a[40:43], v41, s[24:27], 0 offen       // 000000003728: E05C1000 80862829
	v_mfma_f32_16x16x32_fp8_fp8 v[92:95], a[84:85], a[20:21], v[92:95]// 000000003730: D3F3005C 1D722954
	v_mfma_f32_16x16x32_fp8_fp8 v[92:95], a[86:87], a[22:23], v[92:95]// 000000003738: D3F3005C 1D722D56
	v_mfma_f32_16x16x32_fp8_fp8 v[100:103], a[88:89], a[16:17], v[100:103]// 000000003740: D3F30064 1D922158
	v_mfma_f32_16x16x32_fp8_fp8 v[100:103], a[90:91], a[18:19], v[100:103]// 000000003748: D3F30064 1D92255A
	buffer_load_dwordx4 a[44:47], v41, s[24:27], 0 offen offset:1024// 000000003750: E05C1400 80862C29
	v_mfma_f32_16x16x32_fp8_fp8 v[100:103], a[92:93], a[20:21], v[100:103]// 000000003758: D3F30064 1D92295C
	v_mfma_f32_16x16x32_fp8_fp8 v[100:103], a[94:95], a[22:23], v[100:103]// 000000003760: D3F30064 1D922D5E
	v_mfma_f32_16x16x32_fp8_fp8 v[80:83], a[64:65], a[24:25], v[80:83]// 000000003768: D3F30050 1D423140
	v_mfma_f32_16x16x32_fp8_fp8 v[80:83], a[66:67], a[26:27], v[80:83]// 000000003770: D3F30050 1D423542
	buffer_load_dwordx4 a[48:51], v42, s[24:27], 0 offen       // 000000003778: E05C1000 8086302A
	v_mfma_f32_16x16x32_fp8_fp8 v[80:83], a[68:69], a[28:29], v[80:83]// 000000003780: D3F30050 1D423944
	v_mfma_f32_16x16x32_fp8_fp8 v[80:83], a[70:71], a[30:31], v[80:83]// 000000003788: D3F30050 1D423D46
	v_mfma_f32_16x16x32_fp8_fp8 v[88:91], a[72:73], a[24:25], v[88:91]// 000000003790: D3F30058 1D623148
	v_mfma_f32_16x16x32_fp8_fp8 v[88:91], a[74:75], a[26:27], v[88:91]// 000000003798: D3F30058 1D62354A
	buffer_load_dwordx4 a[52:55], v42, s[24:27], 0 offen offset:1024// 0000000037A0: E05C1400 8086342A
	v_mfma_f32_16x16x32_fp8_fp8 v[88:91], a[76:77], a[28:29], v[88:91]// 0000000037A8: D3F30058 1D62394C
	v_mfma_f32_16x16x32_fp8_fp8 v[88:91], a[78:79], a[30:31], v[88:91]// 0000000037B0: D3F30058 1D623D4E
	v_mfma_f32_16x16x32_fp8_fp8 v[96:99], a[80:81], a[24:25], v[96:99]// 0000000037B8: D3F30060 1D823150
	v_mfma_f32_16x16x32_fp8_fp8 v[96:99], a[82:83], a[26:27], v[96:99]// 0000000037C0: D3F30060 1D823552
	buffer_load_dwordx4 a[56:59], v43, s[24:27], 0 offen       // 0000000037C8: E05C1000 8086382B
	v_mfma_f32_16x16x32_fp8_fp8 v[96:99], a[84:85], a[28:29], v[96:99]// 0000000037D0: D3F30060 1D823954
	s_add_u32 s60, 0x180, s80                                  // 0000000037D8: 803C50FF 00000180
	s_cmp_lt_u32 s60, s81                                      // 0000000037E0: BF0A513C
	s_cselect_b32 s57, s57, 0                                  // 0000000037E4: 85398039
	v_mfma_f32_16x16x32_fp8_fp8 v[96:99], a[86:87], a[30:31], v[96:99]// 0000000037E8: D3F30060 1D823D56
	s_add_u32 s60, 0x100, s80                                  // 0000000037F0: 803C50FF 00000100
	s_cmp_lt_u32 s60, s81                                      // 0000000037F8: BF0A513C
	s_cselect_b32 s58, s58, 0                                  // 0000000037FC: 853A803A
	v_mfma_f32_16x16x32_fp8_fp8 v[104:107], a[88:89], a[24:25], v[104:107]// 000000003800: D3F30068 1DA23158
	v_mfma_f32_16x16x32_fp8_fp8 v[104:107], a[90:91], a[26:27], v[104:107]// 000000003808: D3F30068 1DA2355A
	buffer_load_dwordx4 a[60:63], v43, s[24:27], 0 offen offset:1024// 000000003810: E05C1400 80863C2B
	s_add_u32 s20, s57, s20                                    // 000000003818: 80141439
	s_addc_u32 s21, 0, s21                                     // 00000000381C: 82151580
	v_mfma_f32_16x16x32_fp8_fp8 v[104:107], a[92:93], a[28:29], v[104:107]// 000000003820: D3F30068 1DA2395C
	s_add_u32 s84, s83, s84                                    // 000000003828: 80545453
	s_addc_u32 s85, 0, s85                                     // 00000000382C: 82555580
	v_mfma_f32_16x16x32_fp8_fp8 v[104:107], a[94:95], a[30:31], v[104:107]// 000000003830: D3F30068 1DA23D5E
	s_add_u32 s24, s58, s24                                    // 000000003838: 8018183A
	s_addc_u32 s25, 0, s25                                     // 00000000383C: 82191980
	s_addk_i32 s80, 0x80                                       // 000000003840: B7500080
	s_cmp_lt_i32 s80, s81                                      // 000000003844: BF045150
	s_cbranch_scc0 label_0394                                  // 000000003848: BF840001
	s_branch label_01EF                                        // 00000000384C: BF82FE5B

0000000000003850 <label_0394>:
	v_mul_f32_dpp v44, v24, v44 row_newbcast:0 row_mask:0xf bank_mask:0xf// 000000003850: 0A5858FA FF015018
	v_mul_f32_dpp v45, v24, v45 row_newbcast:1 row_mask:0xf bank_mask:0xf// 000000003858: 0A5A5AFA FF015118
	v_mul_f32_dpp v46, v24, v46 row_newbcast:2 row_mask:0xf bank_mask:0xf// 000000003860: 0A5C5CFA FF015218
	v_mul_f32_dpp v47, v24, v47 row_newbcast:3 row_mask:0xf bank_mask:0xf// 000000003868: 0A5E5EFA FF015318
	v_mul_f32_dpp v48, v24, v48 row_newbcast:0 row_mask:0xf bank_mask:0xf// 000000003870: 0A6060FA FF015018
	v_mul_f32_dpp v49, v24, v49 row_newbcast:1 row_mask:0xf bank_mask:0xf// 000000003878: 0A6262FA FF015118
	v_mul_f32_dpp v50, v24, v50 row_newbcast:2 row_mask:0xf bank_mask:0xf// 000000003880: 0A6464FA FF015218
	v_mul_f32_dpp v51, v24, v51 row_newbcast:3 row_mask:0xf bank_mask:0xf// 000000003888: 0A6666FA FF015318
	v_mul_f32_dpp v52, v24, v52 row_newbcast:4 row_mask:0xf bank_mask:0xf// 000000003890: 0A6868FA FF015418
	v_mul_f32_dpp v53, v24, v53 row_newbcast:5 row_mask:0xf bank_mask:0xf// 000000003898: 0A6A6AFA FF015518
	v_mul_f32_dpp v54, v24, v54 row_newbcast:6 row_mask:0xf bank_mask:0xf// 0000000038A0: 0A6C6CFA FF015618
	v_mul_f32_dpp v55, v24, v55 row_newbcast:7 row_mask:0xf bank_mask:0xf// 0000000038A8: 0A6E6EFA FF015718
	v_mul_f32_dpp v56, v24, v56 row_newbcast:4 row_mask:0xf bank_mask:0xf// 0000000038B0: 0A7070FA FF015418
	v_mul_f32_dpp v57, v24, v57 row_newbcast:5 row_mask:0xf bank_mask:0xf// 0000000038B8: 0A7272FA FF015518
	v_mul_f32_dpp v58, v24, v58 row_newbcast:6 row_mask:0xf bank_mask:0xf// 0000000038C0: 0A7474FA FF015618
	v_mul_f32_dpp v59, v24, v59 row_newbcast:7 row_mask:0xf bank_mask:0xf// 0000000038C8: 0A7676FA FF015718
	v_mul_f32_dpp v60, v24, v60 row_newbcast:8 row_mask:0xf bank_mask:0xf// 0000000038D0: 0A7878FA FF015818
	v_mul_f32_dpp v61, v24, v61 row_newbcast:9 row_mask:0xf bank_mask:0xf// 0000000038D8: 0A7A7AFA FF015918
	v_mul_f32_dpp v62, v24, v62 row_newbcast:10 row_mask:0xf bank_mask:0xf// 0000000038E0: 0A7C7CFA FF015A18
	v_mul_f32_dpp v63, v24, v63 row_newbcast:11 row_mask:0xf bank_mask:0xf// 0000000038E8: 0A7E7EFA FF015B18
	v_mul_f32_dpp v64, v24, v64 row_newbcast:8 row_mask:0xf bank_mask:0xf// 0000000038F0: 0A8080FA FF015818
	v_mul_f32_dpp v65, v24, v65 row_newbcast:9 row_mask:0xf bank_mask:0xf// 0000000038F8: 0A8282FA FF015918
	v_mul_f32_dpp v66, v24, v66 row_newbcast:10 row_mask:0xf bank_mask:0xf// 000000003900: 0A8484FA FF015A18
	v_mul_f32_dpp v67, v24, v67 row_newbcast:11 row_mask:0xf bank_mask:0xf// 000000003908: 0A8686FA FF015B18
	v_mul_f32_dpp v68, v24, v68 row_newbcast:12 row_mask:0xf bank_mask:0xf// 000000003910: 0A8888FA FF015C18
	v_mul_f32_dpp v69, v24, v69 row_newbcast:13 row_mask:0xf bank_mask:0xf// 000000003918: 0A8A8AFA FF015D18
	v_mul_f32_dpp v70, v24, v70 row_newbcast:14 row_mask:0xf bank_mask:0xf// 000000003920: 0A8C8CFA FF015E18
	v_mul_f32_dpp v71, v24, v71 row_newbcast:15 row_mask:0xf bank_mask:0xf// 000000003928: 0A8E8EFA FF015F18
	v_mul_f32_dpp v72, v24, v72 row_newbcast:12 row_mask:0xf bank_mask:0xf// 000000003930: 0A9090FA FF015C18
	v_mul_f32_dpp v73, v24, v73 row_newbcast:13 row_mask:0xf bank_mask:0xf// 000000003938: 0A9292FA FF015D18
	v_mul_f32_dpp v74, v24, v74 row_newbcast:14 row_mask:0xf bank_mask:0xf// 000000003940: 0A9494FA FF015E18
	v_mul_f32_dpp v75, v24, v75 row_newbcast:15 row_mask:0xf bank_mask:0xf// 000000003948: 0A9696FA FF015F18
	v_mul_f32_dpp v76, v26, v76 row_newbcast:0 row_mask:0xf bank_mask:0xf// 000000003950: 0A9898FA FF01501A
	v_mul_f32_dpp v77, v26, v77 row_newbcast:1 row_mask:0xf bank_mask:0xf// 000000003958: 0A9A9AFA FF01511A
	v_mul_f32_dpp v78, v26, v78 row_newbcast:2 row_mask:0xf bank_mask:0xf// 000000003960: 0A9C9CFA FF01521A
	v_mul_f32_dpp v79, v26, v79 row_newbcast:3 row_mask:0xf bank_mask:0xf// 000000003968: 0A9E9EFA FF01531A
	v_mul_f32_dpp v80, v26, v80 row_newbcast:0 row_mask:0xf bank_mask:0xf// 000000003970: 0AA0A0FA FF01501A
	v_mul_f32_dpp v81, v26, v81 row_newbcast:1 row_mask:0xf bank_mask:0xf// 000000003978: 0AA2A2FA FF01511A
	v_mul_f32_dpp v82, v26, v82 row_newbcast:2 row_mask:0xf bank_mask:0xf// 000000003980: 0AA4A4FA FF01521A
	v_mul_f32_dpp v83, v26, v83 row_newbcast:3 row_mask:0xf bank_mask:0xf// 000000003988: 0AA6A6FA FF01531A
	v_mul_f32_dpp v84, v26, v84 row_newbcast:4 row_mask:0xf bank_mask:0xf// 000000003990: 0AA8A8FA FF01541A
	v_mul_f32_dpp v85, v26, v85 row_newbcast:5 row_mask:0xf bank_mask:0xf// 000000003998: 0AAAAAFA FF01551A
	v_mul_f32_dpp v86, v26, v86 row_newbcast:6 row_mask:0xf bank_mask:0xf// 0000000039A0: 0AACACFA FF01561A
	v_mul_f32_dpp v87, v26, v87 row_newbcast:7 row_mask:0xf bank_mask:0xf// 0000000039A8: 0AAEAEFA FF01571A
	v_mul_f32_dpp v88, v26, v88 row_newbcast:4 row_mask:0xf bank_mask:0xf// 0000000039B0: 0AB0B0FA FF01541A
	v_mul_f32_dpp v89, v26, v89 row_newbcast:5 row_mask:0xf bank_mask:0xf// 0000000039B8: 0AB2B2FA FF01551A
	v_mul_f32_dpp v90, v26, v90 row_newbcast:6 row_mask:0xf bank_mask:0xf// 0000000039C0: 0AB4B4FA FF01561A
	v_mul_f32_dpp v91, v26, v91 row_newbcast:7 row_mask:0xf bank_mask:0xf// 0000000039C8: 0AB6B6FA FF01571A
	v_mul_f32_dpp v92, v26, v92 row_newbcast:8 row_mask:0xf bank_mask:0xf// 0000000039D0: 0AB8B8FA FF01581A
	v_mul_f32_dpp v93, v26, v93 row_newbcast:9 row_mask:0xf bank_mask:0xf// 0000000039D8: 0ABABAFA FF01591A
	v_mul_f32_dpp v94, v26, v94 row_newbcast:10 row_mask:0xf bank_mask:0xf// 0000000039E0: 0ABCBCFA FF015A1A
	v_mul_f32_dpp v95, v26, v95 row_newbcast:11 row_mask:0xf bank_mask:0xf// 0000000039E8: 0ABEBEFA FF015B1A
	v_mul_f32_dpp v96, v26, v96 row_newbcast:8 row_mask:0xf bank_mask:0xf// 0000000039F0: 0AC0C0FA FF01581A
	v_mul_f32_dpp v97, v26, v97 row_newbcast:9 row_mask:0xf bank_mask:0xf// 0000000039F8: 0AC2C2FA FF01591A
	v_mul_f32_dpp v98, v26, v98 row_newbcast:10 row_mask:0xf bank_mask:0xf// 000000003A00: 0AC4C4FA FF015A1A
	v_mul_f32_dpp v99, v26, v99 row_newbcast:11 row_mask:0xf bank_mask:0xf// 000000003A08: 0AC6C6FA FF015B1A
	v_mul_f32_dpp v100, v26, v100 row_newbcast:12 row_mask:0xf bank_mask:0xf// 000000003A10: 0AC8C8FA FF015C1A
	v_mul_f32_dpp v101, v26, v101 row_newbcast:13 row_mask:0xf bank_mask:0xf// 000000003A18: 0ACACAFA FF015D1A
	v_mul_f32_dpp v102, v26, v102 row_newbcast:14 row_mask:0xf bank_mask:0xf// 000000003A20: 0ACCCCFA FF015E1A
	v_mul_f32_dpp v103, v26, v103 row_newbcast:15 row_mask:0xf bank_mask:0xf// 000000003A28: 0ACECEFA FF015F1A
	v_mul_f32_dpp v104, v26, v104 row_newbcast:12 row_mask:0xf bank_mask:0xf// 000000003A30: 0AD0D0FA FF015C1A
	v_mul_f32_dpp v105, v26, v105 row_newbcast:13 row_mask:0xf bank_mask:0xf// 000000003A38: 0AD2D2FA FF015D1A
	v_mul_f32_dpp v106, v26, v106 row_newbcast:14 row_mask:0xf bank_mask:0xf// 000000003A40: 0AD4D4FA FF015E1A
	v_mul_f32_dpp v107, v26, v107 row_newbcast:15 row_mask:0xf bank_mask:0xf// 000000003A48: 0AD6D6FA FF015F1A
	v_mov_b32_e32 v4, v30                                      // 000000003A50: 7E08031E
	v_mov_b32_e32 v5, v4                                       // 000000003A54: 7E0A0304
	v_pk_mul_f32 v[44:45], v[4:5], v[44:45]                    // 000000003A58: D3B1402C 18025904
	v_pk_mul_f32 v[76:77], v[4:5], v[76:77]                    // 000000003A60: D3B1404C 18029904
	v_pk_mul_f32 v[46:47], v[4:5], v[46:47]                    // 000000003A68: D3B1402E 18025D04
	v_pk_mul_f32 v[78:79], v[4:5], v[78:79]                    // 000000003A70: D3B1404E 18029D04
	v_pk_mul_f32 v[52:53], v[4:5], v[52:53]                    // 000000003A78: D3B14034 18026904
	v_pk_mul_f32 v[84:85], v[4:5], v[84:85]                    // 000000003A80: D3B14054 1802A904
	v_pk_mul_f32 v[54:55], v[4:5], v[54:55]                    // 000000003A88: D3B14036 18026D04
	v_pk_mul_f32 v[86:87], v[4:5], v[86:87]                    // 000000003A90: D3B14056 1802AD04
	v_pk_mul_f32 v[60:61], v[4:5], v[60:61]                    // 000000003A98: D3B1403C 18027904
	v_pk_mul_f32 v[92:93], v[4:5], v[92:93]                    // 000000003AA0: D3B1405C 1802B904
	v_pk_mul_f32 v[62:63], v[4:5], v[62:63]                    // 000000003AA8: D3B1403E 18027D04
	v_pk_mul_f32 v[94:95], v[4:5], v[94:95]                    // 000000003AB0: D3B1405E 1802BD04
	v_pk_mul_f32 v[68:69], v[4:5], v[68:69]                    // 000000003AB8: D3B14044 18028904
	v_pk_mul_f32 v[100:101], v[4:5], v[100:101]                // 000000003AC0: D3B14064 1802C904
	v_pk_mul_f32 v[70:71], v[4:5], v[70:71]                    // 000000003AC8: D3B14046 18028D04
	v_pk_mul_f32 v[102:103], v[4:5], v[102:103]                // 000000003AD0: D3B14066 1802CD04
	v_mov_b32_e32 v4, v31                                      // 000000003AD8: 7E08031F
	v_mov_b32_e32 v5, v4                                       // 000000003ADC: 7E0A0304
	v_pk_mul_f32 v[48:49], v[4:5], v[48:49]                    // 000000003AE0: D3B14030 18026104
	v_pk_mul_f32 v[80:81], v[4:5], v[80:81]                    // 000000003AE8: D3B14050 1802A104
	v_pk_mul_f32 v[50:51], v[4:5], v[50:51]                    // 000000003AF0: D3B14032 18026504
	v_pk_mul_f32 v[82:83], v[4:5], v[82:83]                    // 000000003AF8: D3B14052 1802A504
	v_pk_mul_f32 v[56:57], v[4:5], v[56:57]                    // 000000003B00: D3B14038 18027104
	v_pk_mul_f32 v[88:89], v[4:5], v[88:89]                    // 000000003B08: D3B14058 1802B104
	v_pk_mul_f32 v[58:59], v[4:5], v[58:59]                    // 000000003B10: D3B1403A 18027504
	v_pk_mul_f32 v[90:91], v[4:5], v[90:91]                    // 000000003B18: D3B1405A 1802B504
	v_pk_mul_f32 v[64:65], v[4:5], v[64:65]                    // 000000003B20: D3B14040 18028104
	v_pk_mul_f32 v[96:97], v[4:5], v[96:97]                    // 000000003B28: D3B14060 1802C104
	v_pk_mul_f32 v[66:67], v[4:5], v[66:67]                    // 000000003B30: D3B14042 18028504
	v_pk_mul_f32 v[98:99], v[4:5], v[98:99]                    // 000000003B38: D3B14062 1802C504
	v_pk_mul_f32 v[72:73], v[4:5], v[72:73]                    // 000000003B40: D3B14048 18029104
	v_pk_mul_f32 v[104:105], v[4:5], v[104:105]                // 000000003B48: D3B14068 1802D104
	v_pk_mul_f32 v[74:75], v[4:5], v[74:75]                    // 000000003B50: D3B1404A 18029504
	v_pk_mul_f32 v[106:107], v[4:5], v[106:107]                // 000000003B58: D3B1406A 1802D504
	s_cmp_eq_u32 s88, 0                                        // 000000003B60: BF068058
	s_cbranch_scc0 label_0883                                  // 000000003B64: BF840429
	s_cmp_eq_u32 s89, 0                                        // 000000003B68: BF068059
	s_cbranch_scc1 label_05A1                                  // 000000003B6C: BF850145
	v_mov_b32_e32 v8, v1                                       // 000000003B70: 7E100301
	v_mov_b32_e32 v9, v1                                       // 000000003B74: 7E120301
	s_mov_b32 s60, s6                                          // 000000003B78: BEBC0006
	s_mov_b32 s61, s6                                          // 000000003B7C: BEBD0006
	v_pk_mul_f32 v[4:5], v[44:45], v[44:45]                    // 000000003B80: D3B14004 1802592C
	v_pk_mul_f32 v[6:7], v[46:47], v[46:47]                    // 000000003B88: D3B14006 18025D2E
	v_pk_fma_f32 v[4:5], v[4:5], s[78:79], v[8:9]              // 000000003B90: D3B04004 1C209D04
	v_pk_fma_f32 v[6:7], v[6:7], s[78:79], v[8:9]              // 000000003B98: D3B04006 1C209D06
	v_pk_mul_f32 v[4:5], v[4:5], v[44:45]                      // 000000003BA0: D3B14004 18025904
	v_pk_mul_f32 v[6:7], v[6:7], v[46:47]                      // 000000003BA8: D3B14006 18025D06
	v_pk_mul_f32 v[4:5], v[4:5], s[60:61]                      // 000000003BB0: D3B14004 18007904
	v_pk_mul_f32 v[6:7], v[6:7], s[60:61]                      // 000000003BB8: D3B14006 18007906
	v_exp_f32_e32 v4, v4                                       // 000000003BC0: 7E084104
	v_exp_f32_e32 v5, v5                                       // 000000003BC4: 7E0A4105
	v_exp_f32_e32 v6, v6                                       // 000000003BC8: 7E0C4106
	v_exp_f32_e32 v7, v7                                       // 000000003BCC: 7E0E4107
	v_add_f32_e64 v4, v4, 1.0                                  // 000000003BD0: D1010004 0001E504
	v_add_f32_e64 v5, v5, 1.0                                  // 000000003BD8: D1010005 0001E505
	v_add_f32_e64 v6, v6, 1.0                                  // 000000003BE0: D1010006 0001E506
	v_add_f32_e64 v7, v7, 1.0                                  // 000000003BE8: D1010007 0001E507
	v_rcp_f32_e32 v4, v4                                       // 000000003BF0: 7E084504
	v_rcp_f32_e32 v5, v5                                       // 000000003BF4: 7E0A4505
	v_rcp_f32_e32 v6, v6                                       // 000000003BF8: 7E0C4506
	v_rcp_f32_e32 v7, v7                                       // 000000003BFC: 7E0E4507
	v_mul_f32_e32 v44, v44, v4                                 // 000000003C00: 0A58092C
	v_mul_f32_e32 v45, v45, v5                                 // 000000003C04: 0A5A0B2D
	v_mul_f32_e32 v46, v46, v6                                 // 000000003C08: 0A5C0D2E
	v_mul_f32_e32 v47, v47, v7                                 // 000000003C0C: 0A5E0F2F
	v_mul_f32_e32 v44, v44, v76                                // 000000003C10: 0A58992C
	v_mul_f32_e32 v45, v45, v77                                // 000000003C14: 0A5A9B2D
	v_mul_f32_e32 v46, v46, v78                                // 000000003C18: 0A5C9D2E
	v_mul_f32_e32 v47, v47, v79                                // 000000003C1C: 0A5E9F2F
	v_pk_mul_f32 v[4:5], v[48:49], v[48:49]                    // 000000003C20: D3B14004 18026130
	v_pk_mul_f32 v[6:7], v[50:51], v[50:51]                    // 000000003C28: D3B14006 18026532
	v_pk_fma_f32 v[4:5], v[4:5], s[78:79], v[8:9]              // 000000003C30: D3B04004 1C209D04
	v_pk_fma_f32 v[6:7], v[6:7], s[78:79], v[8:9]              // 000000003C38: D3B04006 1C209D06
	v_pk_mul_f32 v[4:5], v[4:5], v[48:49]                      // 000000003C40: D3B14004 18026104
	v_pk_mul_f32 v[6:7], v[6:7], v[50:51]                      // 000000003C48: D3B14006 18026506
	v_pk_mul_f32 v[4:5], v[4:5], s[60:61]                      // 000000003C50: D3B14004 18007904
	v_pk_mul_f32 v[6:7], v[6:7], s[60:61]                      // 000000003C58: D3B14006 18007906
	v_exp_f32_e32 v4, v4                                       // 000000003C60: 7E084104
	v_exp_f32_e32 v5, v5                                       // 000000003C64: 7E0A4105
	v_exp_f32_e32 v6, v6                                       // 000000003C68: 7E0C4106
	v_exp_f32_e32 v7, v7                                       // 000000003C6C: 7E0E4107
	v_add_f32_e64 v4, v4, 1.0                                  // 000000003C70: D1010004 0001E504
	v_add_f32_e64 v5, v5, 1.0                                  // 000000003C78: D1010005 0001E505
	v_add_f32_e64 v6, v6, 1.0                                  // 000000003C80: D1010006 0001E506
	v_add_f32_e64 v7, v7, 1.0                                  // 000000003C88: D1010007 0001E507
	v_rcp_f32_e32 v4, v4                                       // 000000003C90: 7E084504
	v_rcp_f32_e32 v5, v5                                       // 000000003C94: 7E0A4505
	v_rcp_f32_e32 v6, v6                                       // 000000003C98: 7E0C4506
	v_rcp_f32_e32 v7, v7                                       // 000000003C9C: 7E0E4507
	v_mul_f32_e32 v48, v48, v4                                 // 000000003CA0: 0A600930
	v_mul_f32_e32 v49, v49, v5                                 // 000000003CA4: 0A620B31
	v_mul_f32_e32 v50, v50, v6                                 // 000000003CA8: 0A640D32
	v_mul_f32_e32 v51, v51, v7                                 // 000000003CAC: 0A660F33
	v_mul_f32_e32 v48, v48, v80                                // 000000003CB0: 0A60A130
	v_mul_f32_e32 v49, v49, v81                                // 000000003CB4: 0A62A331
	v_mul_f32_e32 v50, v50, v82                                // 000000003CB8: 0A64A532
	v_mul_f32_e32 v51, v51, v83                                // 000000003CBC: 0A66A733
	v_pk_mul_f32 v[4:5], v[52:53], v[52:53]                    // 000000003CC0: D3B14004 18026934
	v_pk_mul_f32 v[6:7], v[54:55], v[54:55]                    // 000000003CC8: D3B14006 18026D36
	v_pk_fma_f32 v[4:5], v[4:5], s[78:79], v[8:9]              // 000000003CD0: D3B04004 1C209D04
	v_pk_fma_f32 v[6:7], v[6:7], s[78:79], v[8:9]              // 000000003CD8: D3B04006 1C209D06
	v_pk_mul_f32 v[4:5], v[4:5], v[52:53]                      // 000000003CE0: D3B14004 18026904
	v_pk_mul_f32 v[6:7], v[6:7], v[54:55]                      // 000000003CE8: D3B14006 18026D06
	v_pk_mul_f32 v[4:5], v[4:5], s[60:61]                      // 000000003CF0: D3B14004 18007904
	v_pk_mul_f32 v[6:7], v[6:7], s[60:61]                      // 000000003CF8: D3B14006 18007906
	v_exp_f32_e32 v4, v4                                       // 000000003D00: 7E084104
	v_exp_f32_e32 v5, v5                                       // 000000003D04: 7E0A4105
	v_exp_f32_e32 v6, v6                                       // 000000003D08: 7E0C4106
	v_exp_f32_e32 v7, v7                                       // 000000003D0C: 7E0E4107
	v_add_f32_e64 v4, v4, 1.0                                  // 000000003D10: D1010004 0001E504
	v_add_f32_e64 v5, v5, 1.0                                  // 000000003D18: D1010005 0001E505
	v_add_f32_e64 v6, v6, 1.0                                  // 000000003D20: D1010006 0001E506
	v_add_f32_e64 v7, v7, 1.0                                  // 000000003D28: D1010007 0001E507
	v_rcp_f32_e32 v4, v4                                       // 000000003D30: 7E084504
	v_rcp_f32_e32 v5, v5                                       // 000000003D34: 7E0A4505
	v_rcp_f32_e32 v6, v6                                       // 000000003D38: 7E0C4506
	v_rcp_f32_e32 v7, v7                                       // 000000003D3C: 7E0E4507
	v_mul_f32_e32 v52, v52, v4                                 // 000000003D40: 0A680934
	v_mul_f32_e32 v53, v53, v5                                 // 000000003D44: 0A6A0B35
	v_mul_f32_e32 v54, v54, v6                                 // 000000003D48: 0A6C0D36
	v_mul_f32_e32 v55, v55, v7                                 // 000000003D4C: 0A6E0F37
	v_mul_f32_e32 v52, v52, v84                                // 000000003D50: 0A68A934
	v_mul_f32_e32 v53, v53, v85                                // 000000003D54: 0A6AAB35
	v_mul_f32_e32 v54, v54, v86                                // 000000003D58: 0A6CAD36
	v_mul_f32_e32 v55, v55, v87                                // 000000003D5C: 0A6EAF37
	v_pk_mul_f32 v[4:5], v[56:57], v[56:57]                    // 000000003D60: D3B14004 18027138
	v_pk_mul_f32 v[6:7], v[58:59], v[58:59]                    // 000000003D68: D3B14006 1802753A
	v_pk_fma_f32 v[4:5], v[4:5], s[78:79], v[8:9]              // 000000003D70: D3B04004 1C209D04
	v_pk_fma_f32 v[6:7], v[6:7], s[78:79], v[8:9]              // 000000003D78: D3B04006 1C209D06
	v_pk_mul_f32 v[4:5], v[4:5], v[56:57]                      // 000000003D80: D3B14004 18027104
	v_pk_mul_f32 v[6:7], v[6:7], v[58:59]                      // 000000003D88: D3B14006 18027506
	v_pk_mul_f32 v[4:5], v[4:5], s[60:61]                      // 000000003D90: D3B14004 18007904
	v_pk_mul_f32 v[6:7], v[6:7], s[60:61]                      // 000000003D98: D3B14006 18007906
	v_exp_f32_e32 v4, v4                                       // 000000003DA0: 7E084104
	v_exp_f32_e32 v5, v5                                       // 000000003DA4: 7E0A4105
	v_exp_f32_e32 v6, v6                                       // 000000003DA8: 7E0C4106
	v_exp_f32_e32 v7, v7                                       // 000000003DAC: 7E0E4107
	v_add_f32_e64 v4, v4, 1.0                                  // 000000003DB0: D1010004 0001E504
	v_add_f32_e64 v5, v5, 1.0                                  // 000000003DB8: D1010005 0001E505
	v_add_f32_e64 v6, v6, 1.0                                  // 000000003DC0: D1010006 0001E506
	v_add_f32_e64 v7, v7, 1.0                                  // 000000003DC8: D1010007 0001E507
	v_rcp_f32_e32 v4, v4                                       // 000000003DD0: 7E084504
	v_rcp_f32_e32 v5, v5                                       // 000000003DD4: 7E0A4505
	v_rcp_f32_e32 v6, v6                                       // 000000003DD8: 7E0C4506
	v_rcp_f32_e32 v7, v7                                       // 000000003DDC: 7E0E4507
	v_mul_f32_e32 v56, v56, v4                                 // 000000003DE0: 0A700938
	v_mul_f32_e32 v57, v57, v5                                 // 000000003DE4: 0A720B39
	v_mul_f32_e32 v58, v58, v6                                 // 000000003DE8: 0A740D3A
	v_mul_f32_e32 v59, v59, v7                                 // 000000003DEC: 0A760F3B
	v_mul_f32_e32 v56, v56, v88                                // 000000003DF0: 0A70B138
	v_mul_f32_e32 v57, v57, v89                                // 000000003DF4: 0A72B339
	v_mul_f32_e32 v58, v58, v90                                // 000000003DF8: 0A74B53A
	v_mul_f32_e32 v59, v59, v91                                // 000000003DFC: 0A76B73B
	v_pk_mul_f32 v[4:5], v[60:61], v[60:61]                    // 000000003E00: D3B14004 1802793C
	v_pk_mul_f32 v[6:7], v[62:63], v[62:63]                    // 000000003E08: D3B14006 18027D3E
	v_pk_fma_f32 v[4:5], v[4:5], s[78:79], v[8:9]              // 000000003E10: D3B04004 1C209D04
	v_pk_fma_f32 v[6:7], v[6:7], s[78:79], v[8:9]              // 000000003E18: D3B04006 1C209D06
	v_pk_mul_f32 v[4:5], v[4:5], v[60:61]                      // 000000003E20: D3B14004 18027904
	v_pk_mul_f32 v[6:7], v[6:7], v[62:63]                      // 000000003E28: D3B14006 18027D06
	v_pk_mul_f32 v[4:5], v[4:5], s[60:61]                      // 000000003E30: D3B14004 18007904
	v_pk_mul_f32 v[6:7], v[6:7], s[60:61]                      // 000000003E38: D3B14006 18007906
	v_exp_f32_e32 v4, v4                                       // 000000003E40: 7E084104
	v_exp_f32_e32 v5, v5                                       // 000000003E44: 7E0A4105
	v_exp_f32_e32 v6, v6                                       // 000000003E48: 7E0C4106
	v_exp_f32_e32 v7, v7                                       // 000000003E4C: 7E0E4107
	v_add_f32_e64 v4, v4, 1.0                                  // 000000003E50: D1010004 0001E504
	v_add_f32_e64 v5, v5, 1.0                                  // 000000003E58: D1010005 0001E505
	v_add_f32_e64 v6, v6, 1.0                                  // 000000003E60: D1010006 0001E506
	v_add_f32_e64 v7, v7, 1.0                                  // 000000003E68: D1010007 0001E507
	v_rcp_f32_e32 v4, v4                                       // 000000003E70: 7E084504
	v_rcp_f32_e32 v5, v5                                       // 000000003E74: 7E0A4505
	v_rcp_f32_e32 v6, v6                                       // 000000003E78: 7E0C4506
	v_rcp_f32_e32 v7, v7                                       // 000000003E7C: 7E0E4507
	v_mul_f32_e32 v60, v60, v4                                 // 000000003E80: 0A78093C
	v_mul_f32_e32 v61, v61, v5                                 // 000000003E84: 0A7A0B3D
	v_mul_f32_e32 v62, v62, v6                                 // 000000003E88: 0A7C0D3E
	v_mul_f32_e32 v63, v63, v7                                 // 000000003E8C: 0A7E0F3F
	v_mul_f32_e32 v60, v60, v92                                // 000000003E90: 0A78B93C
	v_mul_f32_e32 v61, v61, v93                                // 000000003E94: 0A7ABB3D
	v_mul_f32_e32 v62, v62, v94                                // 000000003E98: 0A7CBD3E
	v_mul_f32_e32 v63, v63, v95                                // 000000003E9C: 0A7EBF3F
	v_pk_mul_f32 v[4:5], v[64:65], v[64:65]                    // 000000003EA0: D3B14004 18028140
	v_pk_mul_f32 v[6:7], v[66:67], v[66:67]                    // 000000003EA8: D3B14006 18028542
	v_pk_fma_f32 v[4:5], v[4:5], s[78:79], v[8:9]              // 000000003EB0: D3B04004 1C209D04
	v_pk_fma_f32 v[6:7], v[6:7], s[78:79], v[8:9]              // 000000003EB8: D3B04006 1C209D06
	v_pk_mul_f32 v[4:5], v[4:5], v[64:65]                      // 000000003EC0: D3B14004 18028104
	v_pk_mul_f32 v[6:7], v[6:7], v[66:67]                      // 000000003EC8: D3B14006 18028506
	v_pk_mul_f32 v[4:5], v[4:5], s[60:61]                      // 000000003ED0: D3B14004 18007904
	v_pk_mul_f32 v[6:7], v[6:7], s[60:61]                      // 000000003ED8: D3B14006 18007906
	v_exp_f32_e32 v4, v4                                       // 000000003EE0: 7E084104
	v_exp_f32_e32 v5, v5                                       // 000000003EE4: 7E0A4105
	v_exp_f32_e32 v6, v6                                       // 000000003EE8: 7E0C4106
	v_exp_f32_e32 v7, v7                                       // 000000003EEC: 7E0E4107
	v_add_f32_e64 v4, v4, 1.0                                  // 000000003EF0: D1010004 0001E504
	v_add_f32_e64 v5, v5, 1.0                                  // 000000003EF8: D1010005 0001E505
	v_add_f32_e64 v6, v6, 1.0                                  // 000000003F00: D1010006 0001E506
	v_add_f32_e64 v7, v7, 1.0                                  // 000000003F08: D1010007 0001E507
	v_rcp_f32_e32 v4, v4                                       // 000000003F10: 7E084504
	v_rcp_f32_e32 v5, v5                                       // 000000003F14: 7E0A4505
	v_rcp_f32_e32 v6, v6                                       // 000000003F18: 7E0C4506
	v_rcp_f32_e32 v7, v7                                       // 000000003F1C: 7E0E4507
	v_mul_f32_e32 v64, v64, v4                                 // 000000003F20: 0A800940
	v_mul_f32_e32 v65, v65, v5                                 // 000000003F24: 0A820B41
	v_mul_f32_e32 v66, v66, v6                                 // 000000003F28: 0A840D42
	v_mul_f32_e32 v67, v67, v7                                 // 000000003F2C: 0A860F43
	v_mul_f32_e32 v64, v64, v96                                // 000000003F30: 0A80C140
	v_mul_f32_e32 v65, v65, v97                                // 000000003F34: 0A82C341
	v_mul_f32_e32 v66, v66, v98                                // 000000003F38: 0A84C542
	v_mul_f32_e32 v67, v67, v99                                // 000000003F3C: 0A86C743
	v_pk_mul_f32 v[4:5], v[68:69], v[68:69]                    // 000000003F40: D3B14004 18028944
	v_pk_mul_f32 v[6:7], v[70:71], v[70:71]                    // 000000003F48: D3B14006 18028D46
	v_pk_fma_f32 v[4:5], v[4:5], s[78:79], v[8:9]              // 000000003F50: D3B04004 1C209D04
	v_pk_fma_f32 v[6:7], v[6:7], s[78:79], v[8:9]              // 000000003F58: D3B04006 1C209D06
	v_pk_mul_f32 v[4:5], v[4:5], v[68:69]                      // 000000003F60: D3B14004 18028904
	v_pk_mul_f32 v[6:7], v[6:7], v[70:71]                      // 000000003F68: D3B14006 18028D06
	v_pk_mul_f32 v[4:5], v[4:5], s[60:61]                      // 000000003F70: D3B14004 18007904
	v_pk_mul_f32 v[6:7], v[6:7], s[60:61]                      // 000000003F78: D3B14006 18007906
	v_exp_f32_e32 v4, v4                                       // 000000003F80: 7E084104
	v_exp_f32_e32 v5, v5                                       // 000000003F84: 7E0A4105
	v_exp_f32_e32 v6, v6                                       // 000000003F88: 7E0C4106
	v_exp_f32_e32 v7, v7                                       // 000000003F8C: 7E0E4107
	v_add_f32_e64 v4, v4, 1.0                                  // 000000003F90: D1010004 0001E504
	v_add_f32_e64 v5, v5, 1.0                                  // 000000003F98: D1010005 0001E505
	v_add_f32_e64 v6, v6, 1.0                                  // 000000003FA0: D1010006 0001E506
	v_add_f32_e64 v7, v7, 1.0                                  // 000000003FA8: D1010007 0001E507
	v_rcp_f32_e32 v4, v4                                       // 000000003FB0: 7E084504
	v_rcp_f32_e32 v5, v5                                       // 000000003FB4: 7E0A4505
	v_rcp_f32_e32 v6, v6                                       // 000000003FB8: 7E0C4506
	v_rcp_f32_e32 v7, v7                                       // 000000003FBC: 7E0E4507
	v_mul_f32_e32 v68, v68, v4                                 // 000000003FC0: 0A880944
	v_mul_f32_e32 v69, v69, v5                                 // 000000003FC4: 0A8A0B45
	v_mul_f32_e32 v70, v70, v6                                 // 000000003FC8: 0A8C0D46
	v_mul_f32_e32 v71, v71, v7                                 // 000000003FCC: 0A8E0F47
	v_mul_f32_e32 v68, v68, v100                               // 000000003FD0: 0A88C944
	v_mul_f32_e32 v69, v69, v101                               // 000000003FD4: 0A8ACB45
	v_mul_f32_e32 v70, v70, v102                               // 000000003FD8: 0A8CCD46
	v_mul_f32_e32 v71, v71, v103                               // 000000003FDC: 0A8ECF47
	v_pk_mul_f32 v[4:5], v[72:73], v[72:73]                    // 000000003FE0: D3B14004 18029148
	v_pk_mul_f32 v[6:7], v[74:75], v[74:75]                    // 000000003FE8: D3B14006 1802954A
	v_pk_fma_f32 v[4:5], v[4:5], s[78:79], v[8:9]              // 000000003FF0: D3B04004 1C209D04
	v_pk_fma_f32 v[6:7], v[6:7], s[78:79], v[8:9]              // 000000003FF8: D3B04006 1C209D06
	v_pk_mul_f32 v[4:5], v[4:5], v[72:73]                      // 000000004000: D3B14004 18029104
	v_pk_mul_f32 v[6:7], v[6:7], v[74:75]                      // 000000004008: D3B14006 18029506
	v_pk_mul_f32 v[4:5], v[4:5], s[60:61]                      // 000000004010: D3B14004 18007904
	v_pk_mul_f32 v[6:7], v[6:7], s[60:61]                      // 000000004018: D3B14006 18007906
	v_exp_f32_e32 v4, v4                                       // 000000004020: 7E084104
	v_exp_f32_e32 v5, v5                                       // 000000004024: 7E0A4105
	v_exp_f32_e32 v6, v6                                       // 000000004028: 7E0C4106
	v_exp_f32_e32 v7, v7                                       // 00000000402C: 7E0E4107
	v_add_f32_e64 v4, v4, 1.0                                  // 000000004030: D1010004 0001E504
	v_add_f32_e64 v5, v5, 1.0                                  // 000000004038: D1010005 0001E505
	v_add_f32_e64 v6, v6, 1.0                                  // 000000004040: D1010006 0001E506
	v_add_f32_e64 v7, v7, 1.0                                  // 000000004048: D1010007 0001E507
	v_rcp_f32_e32 v4, v4                                       // 000000004050: 7E084504
	v_rcp_f32_e32 v5, v5                                       // 000000004054: 7E0A4505
	v_rcp_f32_e32 v6, v6                                       // 000000004058: 7E0C4506
	v_rcp_f32_e32 v7, v7                                       // 00000000405C: 7E0E4507
	v_mul_f32_e32 v72, v72, v4                                 // 000000004060: 0A900948
	v_mul_f32_e32 v73, v73, v5                                 // 000000004064: 0A920B49
	v_mul_f32_e32 v74, v74, v6                                 // 000000004068: 0A940D4A
	v_mul_f32_e32 v75, v75, v7                                 // 00000000406C: 0A960F4B
	v_mul_f32_e32 v72, v72, v104                               // 000000004070: 0A90D148
	v_mul_f32_e32 v73, v73, v105                               // 000000004074: 0A92D349
	v_mul_f32_e32 v74, v74, v106                               // 000000004078: 0A94D54A
	v_mul_f32_e32 v75, v75, v107                               // 00000000407C: 0A96D74B
	s_branch label_06A1                                        // 000000004080: BF820100

0000000000004084 <label_05A1>:
	v_mul_f32_e64 v4, -v44, s6                                 // 000000004084: D1050004 20000D2C
	v_mul_f32_e64 v5, -v45, s6                                 // 00000000408C: D1050005 20000D2D
	v_mul_f32_e64 v6, -v46, s6                                 // 000000004094: D1050006 20000D2E
	v_mul_f32_e64 v7, -v47, s6                                 // 00000000409C: D1050007 20000D2F
	v_exp_f32_e32 v4, v4                                       // 0000000040A4: 7E084104
	v_exp_f32_e32 v5, v5                                       // 0000000040A8: 7E0A4105
	v_exp_f32_e32 v6, v6                                       // 0000000040AC: 7E0C4106
	v_exp_f32_e32 v7, v7                                       // 0000000040B0: 7E0E4107
	v_add_f32_e64 v4, v4, 1.0                                  // 0000000040B4: D1010004 0001E504
	v_add_f32_e64 v5, v5, 1.0                                  // 0000000040BC: D1010005 0001E505
	v_add_f32_e64 v6, v6, 1.0                                  // 0000000040C4: D1010006 0001E506
	v_add_f32_e64 v7, v7, 1.0                                  // 0000000040CC: D1010007 0001E507
	v_rcp_f32_e32 v4, v4                                       // 0000000040D4: 7E084504
	v_rcp_f32_e32 v5, v5                                       // 0000000040D8: 7E0A4505
	v_rcp_f32_e32 v6, v6                                       // 0000000040DC: 7E0C4506
	v_rcp_f32_e32 v7, v7                                       // 0000000040E0: 7E0E4507
	v_mul_f32_e32 v44, v44, v4                                 // 0000000040E4: 0A58092C
	v_mul_f32_e32 v45, v45, v5                                 // 0000000040E8: 0A5A0B2D
	v_mul_f32_e32 v46, v46, v6                                 // 0000000040EC: 0A5C0D2E
	v_mul_f32_e32 v47, v47, v7                                 // 0000000040F0: 0A5E0F2F
	v_mul_f32_e32 v44, v44, v76                                // 0000000040F4: 0A58992C
	v_mul_f32_e32 v45, v45, v77                                // 0000000040F8: 0A5A9B2D
	v_mul_f32_e32 v46, v46, v78                                // 0000000040FC: 0A5C9D2E
	v_mul_f32_e32 v47, v47, v79                                // 000000004100: 0A5E9F2F
	v_mul_f32_e64 v4, -v48, s6                                 // 000000004104: D1050004 20000D30
	v_mul_f32_e64 v5, -v49, s6                                 // 00000000410C: D1050005 20000D31
	v_mul_f32_e64 v6, -v50, s6                                 // 000000004114: D1050006 20000D32
	v_mul_f32_e64 v7, -v51, s6                                 // 00000000411C: D1050007 20000D33
	v_exp_f32_e32 v4, v4                                       // 000000004124: 7E084104
	v_exp_f32_e32 v5, v5                                       // 000000004128: 7E0A4105
	v_exp_f32_e32 v6, v6                                       // 00000000412C: 7E0C4106
	v_exp_f32_e32 v7, v7                                       // 000000004130: 7E0E4107
	v_add_f32_e64 v4, v4, 1.0                                  // 000000004134: D1010004 0001E504
	v_add_f32_e64 v5, v5, 1.0                                  // 00000000413C: D1010005 0001E505
	v_add_f32_e64 v6, v6, 1.0                                  // 000000004144: D1010006 0001E506
	v_add_f32_e64 v7, v7, 1.0                                  // 00000000414C: D1010007 0001E507
	v_rcp_f32_e32 v4, v4                                       // 000000004154: 7E084504
	v_rcp_f32_e32 v5, v5                                       // 000000004158: 7E0A4505
	v_rcp_f32_e32 v6, v6                                       // 00000000415C: 7E0C4506
	v_rcp_f32_e32 v7, v7                                       // 000000004160: 7E0E4507
	v_mul_f32_e32 v48, v48, v4                                 // 000000004164: 0A600930
	v_mul_f32_e32 v49, v49, v5                                 // 000000004168: 0A620B31
	v_mul_f32_e32 v50, v50, v6                                 // 00000000416C: 0A640D32
	v_mul_f32_e32 v51, v51, v7                                 // 000000004170: 0A660F33
	v_mul_f32_e32 v48, v48, v80                                // 000000004174: 0A60A130
	v_mul_f32_e32 v49, v49, v81                                // 000000004178: 0A62A331
	v_mul_f32_e32 v50, v50, v82                                // 00000000417C: 0A64A532
	v_mul_f32_e32 v51, v51, v83                                // 000000004180: 0A66A733
	v_mul_f32_e64 v4, -v52, s6                                 // 000000004184: D1050004 20000D34
	v_mul_f32_e64 v5, -v53, s6                                 // 00000000418C: D1050005 20000D35
	v_mul_f32_e64 v6, -v54, s6                                 // 000000004194: D1050006 20000D36
	v_mul_f32_e64 v7, -v55, s6                                 // 00000000419C: D1050007 20000D37
	v_exp_f32_e32 v4, v4                                       // 0000000041A4: 7E084104
	v_exp_f32_e32 v5, v5                                       // 0000000041A8: 7E0A4105
	v_exp_f32_e32 v6, v6                                       // 0000000041AC: 7E0C4106
	v_exp_f32_e32 v7, v7                                       // 0000000041B0: 7E0E4107
	v_add_f32_e64 v4, v4, 1.0                                  // 0000000041B4: D1010004 0001E504
	v_add_f32_e64 v5, v5, 1.0                                  // 0000000041BC: D1010005 0001E505
	v_add_f32_e64 v6, v6, 1.0                                  // 0000000041C4: D1010006 0001E506
	v_add_f32_e64 v7, v7, 1.0                                  // 0000000041CC: D1010007 0001E507
	v_rcp_f32_e32 v4, v4                                       // 0000000041D4: 7E084504
	v_rcp_f32_e32 v5, v5                                       // 0000000041D8: 7E0A4505
	v_rcp_f32_e32 v6, v6                                       // 0000000041DC: 7E0C4506
	v_rcp_f32_e32 v7, v7                                       // 0000000041E0: 7E0E4507
	v_mul_f32_e32 v52, v52, v4                                 // 0000000041E4: 0A680934
	v_mul_f32_e32 v53, v53, v5                                 // 0000000041E8: 0A6A0B35
	v_mul_f32_e32 v54, v54, v6                                 // 0000000041EC: 0A6C0D36
	v_mul_f32_e32 v55, v55, v7                                 // 0000000041F0: 0A6E0F37
	v_mul_f32_e32 v52, v52, v84                                // 0000000041F4: 0A68A934
	v_mul_f32_e32 v53, v53, v85                                // 0000000041F8: 0A6AAB35
	v_mul_f32_e32 v54, v54, v86                                // 0000000041FC: 0A6CAD36
	v_mul_f32_e32 v55, v55, v87                                // 000000004200: 0A6EAF37
	v_mul_f32_e64 v4, -v56, s6                                 // 000000004204: D1050004 20000D38
	v_mul_f32_e64 v5, -v57, s6                                 // 00000000420C: D1050005 20000D39
	v_mul_f32_e64 v6, -v58, s6                                 // 000000004214: D1050006 20000D3A
	v_mul_f32_e64 v7, -v59, s6                                 // 00000000421C: D1050007 20000D3B
	v_exp_f32_e32 v4, v4                                       // 000000004224: 7E084104
	v_exp_f32_e32 v5, v5                                       // 000000004228: 7E0A4105
	v_exp_f32_e32 v6, v6                                       // 00000000422C: 7E0C4106
	v_exp_f32_e32 v7, v7                                       // 000000004230: 7E0E4107
	v_add_f32_e64 v4, v4, 1.0                                  // 000000004234: D1010004 0001E504
	v_add_f32_e64 v5, v5, 1.0                                  // 00000000423C: D1010005 0001E505
	v_add_f32_e64 v6, v6, 1.0                                  // 000000004244: D1010006 0001E506
	v_add_f32_e64 v7, v7, 1.0                                  // 00000000424C: D1010007 0001E507
	v_rcp_f32_e32 v4, v4                                       // 000000004254: 7E084504
	v_rcp_f32_e32 v5, v5                                       // 000000004258: 7E0A4505
	v_rcp_f32_e32 v6, v6                                       // 00000000425C: 7E0C4506
	v_rcp_f32_e32 v7, v7                                       // 000000004260: 7E0E4507
	v_mul_f32_e32 v56, v56, v4                                 // 000000004264: 0A700938
	v_mul_f32_e32 v57, v57, v5                                 // 000000004268: 0A720B39
	v_mul_f32_e32 v58, v58, v6                                 // 00000000426C: 0A740D3A
	v_mul_f32_e32 v59, v59, v7                                 // 000000004270: 0A760F3B
	v_mul_f32_e32 v56, v56, v88                                // 000000004274: 0A70B138
	v_mul_f32_e32 v57, v57, v89                                // 000000004278: 0A72B339
	v_mul_f32_e32 v58, v58, v90                                // 00000000427C: 0A74B53A
	v_mul_f32_e32 v59, v59, v91                                // 000000004280: 0A76B73B
	v_mul_f32_e64 v4, -v60, s6                                 // 000000004284: D1050004 20000D3C
	v_mul_f32_e64 v5, -v61, s6                                 // 00000000428C: D1050005 20000D3D
	v_mul_f32_e64 v6, -v62, s6                                 // 000000004294: D1050006 20000D3E
	v_mul_f32_e64 v7, -v63, s6                                 // 00000000429C: D1050007 20000D3F
	v_exp_f32_e32 v4, v4                                       // 0000000042A4: 7E084104
	v_exp_f32_e32 v5, v5                                       // 0000000042A8: 7E0A4105
	v_exp_f32_e32 v6, v6                                       // 0000000042AC: 7E0C4106
	v_exp_f32_e32 v7, v7                                       // 0000000042B0: 7E0E4107
	v_add_f32_e64 v4, v4, 1.0                                  // 0000000042B4: D1010004 0001E504
	v_add_f32_e64 v5, v5, 1.0                                  // 0000000042BC: D1010005 0001E505
	v_add_f32_e64 v6, v6, 1.0                                  // 0000000042C4: D1010006 0001E506
	v_add_f32_e64 v7, v7, 1.0                                  // 0000000042CC: D1010007 0001E507
	v_rcp_f32_e32 v4, v4                                       // 0000000042D4: 7E084504
	v_rcp_f32_e32 v5, v5                                       // 0000000042D8: 7E0A4505
	v_rcp_f32_e32 v6, v6                                       // 0000000042DC: 7E0C4506
	v_rcp_f32_e32 v7, v7                                       // 0000000042E0: 7E0E4507
	v_mul_f32_e32 v60, v60, v4                                 // 0000000042E4: 0A78093C
	v_mul_f32_e32 v61, v61, v5                                 // 0000000042E8: 0A7A0B3D
	v_mul_f32_e32 v62, v62, v6                                 // 0000000042EC: 0A7C0D3E
	v_mul_f32_e32 v63, v63, v7                                 // 0000000042F0: 0A7E0F3F
	v_mul_f32_e32 v60, v60, v92                                // 0000000042F4: 0A78B93C
	v_mul_f32_e32 v61, v61, v93                                // 0000000042F8: 0A7ABB3D
	v_mul_f32_e32 v62, v62, v94                                // 0000000042FC: 0A7CBD3E
	v_mul_f32_e32 v63, v63, v95                                // 000000004300: 0A7EBF3F
	v_mul_f32_e64 v4, -v64, s6                                 // 000000004304: D1050004 20000D40
	v_mul_f32_e64 v5, -v65, s6                                 // 00000000430C: D1050005 20000D41
	v_mul_f32_e64 v6, -v66, s6                                 // 000000004314: D1050006 20000D42
	v_mul_f32_e64 v7, -v67, s6                                 // 00000000431C: D1050007 20000D43
	v_exp_f32_e32 v4, v4                                       // 000000004324: 7E084104
	v_exp_f32_e32 v5, v5                                       // 000000004328: 7E0A4105
	v_exp_f32_e32 v6, v6                                       // 00000000432C: 7E0C4106
	v_exp_f32_e32 v7, v7                                       // 000000004330: 7E0E4107
	v_add_f32_e64 v4, v4, 1.0                                  // 000000004334: D1010004 0001E504
	v_add_f32_e64 v5, v5, 1.0                                  // 00000000433C: D1010005 0001E505
	v_add_f32_e64 v6, v6, 1.0                                  // 000000004344: D1010006 0001E506
	v_add_f32_e64 v7, v7, 1.0                                  // 00000000434C: D1010007 0001E507
	v_rcp_f32_e32 v4, v4                                       // 000000004354: 7E084504
	v_rcp_f32_e32 v5, v5                                       // 000000004358: 7E0A4505
	v_rcp_f32_e32 v6, v6                                       // 00000000435C: 7E0C4506
	v_rcp_f32_e32 v7, v7                                       // 000000004360: 7E0E4507
	v_mul_f32_e32 v64, v64, v4                                 // 000000004364: 0A800940
	v_mul_f32_e32 v65, v65, v5                                 // 000000004368: 0A820B41
	v_mul_f32_e32 v66, v66, v6                                 // 00000000436C: 0A840D42
	v_mul_f32_e32 v67, v67, v7                                 // 000000004370: 0A860F43
	v_mul_f32_e32 v64, v64, v96                                // 000000004374: 0A80C140
	v_mul_f32_e32 v65, v65, v97                                // 000000004378: 0A82C341
	v_mul_f32_e32 v66, v66, v98                                // 00000000437C: 0A84C542
	v_mul_f32_e32 v67, v67, v99                                // 000000004380: 0A86C743
	v_mul_f32_e64 v4, -v68, s6                                 // 000000004384: D1050004 20000D44
	v_mul_f32_e64 v5, -v69, s6                                 // 00000000438C: D1050005 20000D45
	v_mul_f32_e64 v6, -v70, s6                                 // 000000004394: D1050006 20000D46
	v_mul_f32_e64 v7, -v71, s6                                 // 00000000439C: D1050007 20000D47
	v_exp_f32_e32 v4, v4                                       // 0000000043A4: 7E084104
	v_exp_f32_e32 v5, v5                                       // 0000000043A8: 7E0A4105
	v_exp_f32_e32 v6, v6                                       // 0000000043AC: 7E0C4106
	v_exp_f32_e32 v7, v7                                       // 0000000043B0: 7E0E4107
	v_add_f32_e64 v4, v4, 1.0                                  // 0000000043B4: D1010004 0001E504
	v_add_f32_e64 v5, v5, 1.0                                  // 0000000043BC: D1010005 0001E505
	v_add_f32_e64 v6, v6, 1.0                                  // 0000000043C4: D1010006 0001E506
	v_add_f32_e64 v7, v7, 1.0                                  // 0000000043CC: D1010007 0001E507
	v_rcp_f32_e32 v4, v4                                       // 0000000043D4: 7E084504
	v_rcp_f32_e32 v5, v5                                       // 0000000043D8: 7E0A4505
	v_rcp_f32_e32 v6, v6                                       // 0000000043DC: 7E0C4506
	v_rcp_f32_e32 v7, v7                                       // 0000000043E0: 7E0E4507
	v_mul_f32_e32 v68, v68, v4                                 // 0000000043E4: 0A880944
	v_mul_f32_e32 v69, v69, v5                                 // 0000000043E8: 0A8A0B45
	v_mul_f32_e32 v70, v70, v6                                 // 0000000043EC: 0A8C0D46
	v_mul_f32_e32 v71, v71, v7                                 // 0000000043F0: 0A8E0F47
	v_mul_f32_e32 v68, v68, v100                               // 0000000043F4: 0A88C944
	v_mul_f32_e32 v69, v69, v101                               // 0000000043F8: 0A8ACB45
	v_mul_f32_e32 v70, v70, v102                               // 0000000043FC: 0A8CCD46
	v_mul_f32_e32 v71, v71, v103                               // 000000004400: 0A8ECF47
	v_mul_f32_e64 v4, -v72, s6                                 // 000000004404: D1050004 20000D48
	v_mul_f32_e64 v5, -v73, s6                                 // 00000000440C: D1050005 20000D49
	v_mul_f32_e64 v6, -v74, s6                                 // 000000004414: D1050006 20000D4A
	v_mul_f32_e64 v7, -v75, s6                                 // 00000000441C: D1050007 20000D4B
	v_exp_f32_e32 v4, v4                                       // 000000004424: 7E084104
	v_exp_f32_e32 v5, v5                                       // 000000004428: 7E0A4105
	v_exp_f32_e32 v6, v6                                       // 00000000442C: 7E0C4106
	v_exp_f32_e32 v7, v7                                       // 000000004430: 7E0E4107
	v_add_f32_e64 v4, v4, 1.0                                  // 000000004434: D1010004 0001E504
	v_add_f32_e64 v5, v5, 1.0                                  // 00000000443C: D1010005 0001E505
	v_add_f32_e64 v6, v6, 1.0                                  // 000000004444: D1010006 0001E506
	v_add_f32_e64 v7, v7, 1.0                                  // 00000000444C: D1010007 0001E507
	v_rcp_f32_e32 v4, v4                                       // 000000004454: 7E084504
	v_rcp_f32_e32 v5, v5                                       // 000000004458: 7E0A4505
	v_rcp_f32_e32 v6, v6                                       // 00000000445C: 7E0C4506
	v_rcp_f32_e32 v7, v7                                       // 000000004460: 7E0E4507
	v_mul_f32_e32 v72, v72, v4                                 // 000000004464: 0A900948
	v_mul_f32_e32 v73, v73, v5                                 // 000000004468: 0A920B49
	v_mul_f32_e32 v74, v74, v6                                 // 00000000446C: 0A940D4A
	v_mul_f32_e32 v75, v75, v7                                 // 000000004470: 0A960F4B
	v_mul_f32_e32 v72, v72, v104                               // 000000004474: 0A90D148
	v_mul_f32_e32 v73, v73, v105                               // 000000004478: 0A92D349
	v_mul_f32_e32 v74, v74, v106                               // 00000000447C: 0A94D54A
	v_mul_f32_e32 v75, v75, v107                               // 000000004480: 0A96D74B

0000000000004484 <label_06A1>:
	v_cmp_u_f32_e64 s[46:47], v44, v44                         // 000000004484: D048002E 0002592C
	v_add3_u32 v16, v44, v19, 1                                // 00000000448C: D1FF0010 0206272C
	v_cndmask_b32_e64 v4, v16, v18, s[46:47]                   // 000000004494: D1000004 00BA2510
	v_cmp_u_f32_e64 s[46:47], v45, v45                         // 00000000449C: D048002E 00025B2D
	v_add3_u32 v16, v45, v19, 1                                // 0000000044A4: D1FF0010 0206272D
	v_cndmask_b32_e64 v5, v16, v18, s[46:47]                   // 0000000044AC: D1000005 00BA2510
	v_perm_b32 v44, v5, v4, s52                                // 0000000044B4: D1ED002C 00D20905
	v_cmp_u_f32_e64 s[46:47], v46, v46                         // 0000000044BC: D048002E 00025D2E
	v_add3_u32 v16, v46, v19, 1                                // 0000000044C4: D1FF0010 0206272E
	v_cndmask_b32_e64 v4, v16, v18, s[46:47]                   // 0000000044CC: D1000004 00BA2510
	v_cmp_u_f32_e64 s[46:47], v47, v47                         // 0000000044D4: D048002E 00025F2F
	v_add3_u32 v16, v47, v19, 1                                // 0000000044DC: D1FF0010 0206272F
	v_cndmask_b32_e64 v5, v16, v18, s[46:47]                   // 0000000044E4: D1000005 00BA2510
	v_perm_b32 v45, v5, v4, s52                                // 0000000044EC: D1ED002D 00D20905
	v_cmp_u_f32_e64 s[46:47], v48, v48                         // 0000000044F4: D048002E 00026130
	v_add3_u32 v16, v48, v19, 1                                // 0000000044FC: D1FF0010 02062730
	v_cndmask_b32_e64 v4, v16, v18, s[46:47]                   // 000000004504: D1000004 00BA2510
	v_cmp_u_f32_e64 s[46:47], v49, v49                         // 00000000450C: D048002E 00026331
	v_add3_u32 v16, v49, v19, 1                                // 000000004514: D1FF0010 02062731
	v_cndmask_b32_e64 v5, v16, v18, s[46:47]                   // 00000000451C: D1000005 00BA2510
	v_perm_b32 v46, v5, v4, s52                                // 000000004524: D1ED002E 00D20905
	v_cmp_u_f32_e64 s[46:47], v50, v50                         // 00000000452C: D048002E 00026532
	v_add3_u32 v16, v50, v19, 1                                // 000000004534: D1FF0010 02062732
	v_cndmask_b32_e64 v4, v16, v18, s[46:47]                   // 00000000453C: D1000004 00BA2510
	v_cmp_u_f32_e64 s[46:47], v51, v51                         // 000000004544: D048002E 00026733
	v_add3_u32 v16, v51, v19, 1                                // 00000000454C: D1FF0010 02062733
	v_cndmask_b32_e64 v5, v16, v18, s[46:47]                   // 000000004554: D1000005 00BA2510
	v_perm_b32 v47, v5, v4, s52                                // 00000000455C: D1ED002F 00D20905
	v_cmp_u_f32_e64 s[46:47], v52, v52                         // 000000004564: D048002E 00026934
	v_add3_u32 v16, v52, v19, 1                                // 00000000456C: D1FF0010 02062734
	v_cndmask_b32_e64 v4, v16, v18, s[46:47]                   // 000000004574: D1000004 00BA2510
	v_cmp_u_f32_e64 s[46:47], v53, v53                         // 00000000457C: D048002E 00026B35
	v_add3_u32 v16, v53, v19, 1                                // 000000004584: D1FF0010 02062735
	v_cndmask_b32_e64 v5, v16, v18, s[46:47]                   // 00000000458C: D1000005 00BA2510
	v_perm_b32 v48, v5, v4, s52                                // 000000004594: D1ED0030 00D20905
	v_cmp_u_f32_e64 s[46:47], v54, v54                         // 00000000459C: D048002E 00026D36
	v_add3_u32 v16, v54, v19, 1                                // 0000000045A4: D1FF0010 02062736
	v_cndmask_b32_e64 v4, v16, v18, s[46:47]                   // 0000000045AC: D1000004 00BA2510
	v_cmp_u_f32_e64 s[46:47], v55, v55                         // 0000000045B4: D048002E 00026F37
	v_add3_u32 v16, v55, v19, 1                                // 0000000045BC: D1FF0010 02062737
	v_cndmask_b32_e64 v5, v16, v18, s[46:47]                   // 0000000045C4: D1000005 00BA2510
	v_perm_b32 v49, v5, v4, s52                                // 0000000045CC: D1ED0031 00D20905
	v_cmp_u_f32_e64 s[46:47], v56, v56                         // 0000000045D4: D048002E 00027138
	v_add3_u32 v16, v56, v19, 1                                // 0000000045DC: D1FF0010 02062738
	v_cndmask_b32_e64 v4, v16, v18, s[46:47]                   // 0000000045E4: D1000004 00BA2510
	v_cmp_u_f32_e64 s[46:47], v57, v57                         // 0000000045EC: D048002E 00027339
	v_add3_u32 v16, v57, v19, 1                                // 0000000045F4: D1FF0010 02062739
	v_cndmask_b32_e64 v5, v16, v18, s[46:47]                   // 0000000045FC: D1000005 00BA2510
	v_perm_b32 v50, v5, v4, s52                                // 000000004604: D1ED0032 00D20905
	v_cmp_u_f32_e64 s[46:47], v58, v58                         // 00000000460C: D048002E 0002753A
	v_add3_u32 v16, v58, v19, 1                                // 000000004614: D1FF0010 0206273A
	v_cndmask_b32_e64 v4, v16, v18, s[46:47]                   // 00000000461C: D1000004 00BA2510
	v_cmp_u_f32_e64 s[46:47], v59, v59                         // 000000004624: D048002E 0002773B
	v_add3_u32 v16, v59, v19, 1                                // 00000000462C: D1FF0010 0206273B
	v_cndmask_b32_e64 v5, v16, v18, s[46:47]                   // 000000004634: D1000005 00BA2510
	v_perm_b32 v51, v5, v4, s52                                // 00000000463C: D1ED0033 00D20905
	v_cmp_u_f32_e64 s[46:47], v60, v60                         // 000000004644: D048002E 0002793C
	v_add3_u32 v16, v60, v19, 1                                // 00000000464C: D1FF0010 0206273C
	v_cndmask_b32_e64 v4, v16, v18, s[46:47]                   // 000000004654: D1000004 00BA2510
	v_cmp_u_f32_e64 s[46:47], v61, v61                         // 00000000465C: D048002E 00027B3D
	v_add3_u32 v16, v61, v19, 1                                // 000000004664: D1FF0010 0206273D
	v_cndmask_b32_e64 v5, v16, v18, s[46:47]                   // 00000000466C: D1000005 00BA2510
	v_perm_b32 v52, v5, v4, s52                                // 000000004674: D1ED0034 00D20905
	v_cmp_u_f32_e64 s[46:47], v62, v62                         // 00000000467C: D048002E 00027D3E
	v_add3_u32 v16, v62, v19, 1                                // 000000004684: D1FF0010 0206273E
	v_cndmask_b32_e64 v4, v16, v18, s[46:47]                   // 00000000468C: D1000004 00BA2510
	v_cmp_u_f32_e64 s[46:47], v63, v63                         // 000000004694: D048002E 00027F3F
	v_add3_u32 v16, v63, v19, 1                                // 00000000469C: D1FF0010 0206273F
	v_cndmask_b32_e64 v5, v16, v18, s[46:47]                   // 0000000046A4: D1000005 00BA2510
	v_perm_b32 v53, v5, v4, s52                                // 0000000046AC: D1ED0035 00D20905
	v_cmp_u_f32_e64 s[46:47], v64, v64                         // 0000000046B4: D048002E 00028140
	v_add3_u32 v16, v64, v19, 1                                // 0000000046BC: D1FF0010 02062740
	v_cndmask_b32_e64 v4, v16, v18, s[46:47]                   // 0000000046C4: D1000004 00BA2510
	v_cmp_u_f32_e64 s[46:47], v65, v65                         // 0000000046CC: D048002E 00028341
	v_add3_u32 v16, v65, v19, 1                                // 0000000046D4: D1FF0010 02062741
	v_cndmask_b32_e64 v5, v16, v18, s[46:47]                   // 0000000046DC: D1000005 00BA2510
	v_perm_b32 v54, v5, v4, s52                                // 0000000046E4: D1ED0036 00D20905
	v_cmp_u_f32_e64 s[46:47], v66, v66                         // 0000000046EC: D048002E 00028542
	v_add3_u32 v16, v66, v19, 1                                // 0000000046F4: D1FF0010 02062742
	v_cndmask_b32_e64 v4, v16, v18, s[46:47]                   // 0000000046FC: D1000004 00BA2510
	v_cmp_u_f32_e64 s[46:47], v67, v67                         // 000000004704: D048002E 00028743
	v_add3_u32 v16, v67, v19, 1                                // 00000000470C: D1FF0010 02062743
	v_cndmask_b32_e64 v5, v16, v18, s[46:47]                   // 000000004714: D1000005 00BA2510
	v_perm_b32 v55, v5, v4, s52                                // 00000000471C: D1ED0037 00D20905
	v_cmp_u_f32_e64 s[46:47], v68, v68                         // 000000004724: D048002E 00028944
	v_add3_u32 v16, v68, v19, 1                                // 00000000472C: D1FF0010 02062744
	v_cndmask_b32_e64 v4, v16, v18, s[46:47]                   // 000000004734: D1000004 00BA2510
	v_cmp_u_f32_e64 s[46:47], v69, v69                         // 00000000473C: D048002E 00028B45
	v_add3_u32 v16, v69, v19, 1                                // 000000004744: D1FF0010 02062745
	v_cndmask_b32_e64 v5, v16, v18, s[46:47]                   // 00000000474C: D1000005 00BA2510
	v_perm_b32 v56, v5, v4, s52                                // 000000004754: D1ED0038 00D20905
	v_cmp_u_f32_e64 s[46:47], v70, v70                         // 00000000475C: D048002E 00028D46
	v_add3_u32 v16, v70, v19, 1                                // 000000004764: D1FF0010 02062746
	v_cndmask_b32_e64 v4, v16, v18, s[46:47]                   // 00000000476C: D1000004 00BA2510
	v_cmp_u_f32_e64 s[46:47], v71, v71                         // 000000004774: D048002E 00028F47
	v_add3_u32 v16, v71, v19, 1                                // 00000000477C: D1FF0010 02062747
	v_cndmask_b32_e64 v5, v16, v18, s[46:47]                   // 000000004784: D1000005 00BA2510
	v_perm_b32 v57, v5, v4, s52                                // 00000000478C: D1ED0039 00D20905
	v_cmp_u_f32_e64 s[46:47], v72, v72                         // 000000004794: D048002E 00029148
	v_add3_u32 v16, v72, v19, 1                                // 00000000479C: D1FF0010 02062748
	v_cndmask_b32_e64 v4, v16, v18, s[46:47]                   // 0000000047A4: D1000004 00BA2510
	v_cmp_u_f32_e64 s[46:47], v73, v73                         // 0000000047AC: D048002E 00029349
	v_add3_u32 v16, v73, v19, 1                                // 0000000047B4: D1FF0010 02062749
	v_cndmask_b32_e64 v5, v16, v18, s[46:47]                   // 0000000047BC: D1000005 00BA2510
	v_perm_b32 v58, v5, v4, s52                                // 0000000047C4: D1ED003A 00D20905
	v_cmp_u_f32_e64 s[46:47], v74, v74                         // 0000000047CC: D048002E 0002954A
	v_add3_u32 v16, v74, v19, 1                                // 0000000047D4: D1FF0010 0206274A
	v_cndmask_b32_e64 v4, v16, v18, s[46:47]                   // 0000000047DC: D1000004 00BA2510
	v_cmp_u_f32_e64 s[46:47], v75, v75                         // 0000000047E4: D048002E 0002974B
	v_add3_u32 v16, v75, v19, 1                                // 0000000047EC: D1FF0010 0206274B
	v_cndmask_b32_e64 v5, v16, v18, s[46:47]                   // 0000000047F4: D1000005 00BA2510
	v_perm_b32 v59, v5, v4, s52                                // 0000000047FC: D1ED003B 00D20905
	ds_write_b64 v20, v[44:45]                                 // 000000004804: D89A0000 00002C14
	ds_write_b64 v20, v[46:47] offset:8704                     // 00000000480C: D89A2200 00002E14
	ds_write_b64 v20, v[48:49] offset:2176                     // 000000004814: D89A0880 00003014
	ds_write_b64 v20, v[50:51] offset:10880                    // 00000000481C: D89A2A80 00003214
	ds_write_b64 v20, v[52:53] offset:4352                     // 000000004824: D89A1100 00003414
	ds_write_b64 v20, v[54:55] offset:13056                    // 00000000482C: D89A3300 00003614
	ds_write_b64 v20, v[56:57] offset:6528                     // 000000004834: D89A1980 00003814
	ds_write_b64 v20, v[58:59] offset:15232                    // 00000000483C: D89A3B80 00003A14
	v_lshrrev_b32_e32 v4, 5, v0                                // 000000004844: 20080085
	v_xor_b32_e32 v5, 1, v4                                    // 000000004848: 2A0A0881
	s_mul_i32 s60, s65, 2                                      // 00000000484C: 923C8241
	s_cmp_eq_u32 s88, 0                                        // 000000004850: BF068058
	s_cselect_b32 s61, 1, 4                                    // 000000004854: 853D8481
	s_mul_i32 s60, s61, s60                                    // 000000004858: 923C3C3D
	v_readlane_b32 s82, v3, 0                                  // 00000000485C: D2890052 00010103
	s_lshr_b32 s61, s82, 24                                    // 000000004864: 8F3D9852
	s_and_b32 s82, s82, 0xffffff                               // 000000004868: 8652FF52 00FFFFFF
	s_mul_i32 s82, s82, s71                                    // 000000004870: 92524752
	s_mul_i32 s61, s60, s61                                    // 000000004874: 923D3D3C
	s_add_u32 s82, s82, s61                                    // 000000004878: 80523D52
	v_mul_lo_u32 v6, v5, s82                                   // 00000000487C: D2850006 0000A505
	v_readlane_b32 s82, v3, 1                                  // 000000004884: D2890052 00010303
	s_lshr_b32 s61, s82, 24                                    // 00000000488C: 8F3D9852
	s_and_b32 s82, s82, 0xffffff                               // 000000004890: 8652FF52 00FFFFFF
	s_mul_i32 s82, s82, s71                                    // 000000004898: 92524752
	s_mul_i32 s61, s60, s61                                    // 00000000489C: 923D3D3C
	s_add_u32 s82, s82, s61                                    // 0000000048A0: 80523D52
	v_mul_lo_u32 v7, v4, s82                                   // 0000000048A4: D2850007 0000A504
	v_add_u32_e32 v36, v6, v7                                  // 0000000048AC: 68480F06
	v_readlane_b32 s82, v3, 2                                  // 0000000048B0: D2890052 00010503
	s_lshr_b32 s61, s82, 24                                    // 0000000048B8: 8F3D9852
	s_and_b32 s82, s82, 0xffffff                               // 0000000048BC: 8652FF52 00FFFFFF
	s_mul_i32 s82, s82, s71                                    // 0000000048C4: 92524752
	s_mul_i32 s61, s60, s61                                    // 0000000048C8: 923D3D3C
	s_add_u32 s82, s82, s61                                    // 0000000048CC: 80523D52
	v_mul_lo_u32 v6, v5, s82                                   // 0000000048D0: D2850006 0000A505
	v_readlane_b32 s82, v3, 3                                  // 0000000048D8: D2890052 00010703
	s_lshr_b32 s61, s82, 24                                    // 0000000048E0: 8F3D9852
	s_and_b32 s82, s82, 0xffffff                               // 0000000048E4: 8652FF52 00FFFFFF
	s_mul_i32 s82, s82, s71                                    // 0000000048EC: 92524752
	s_mul_i32 s61, s60, s61                                    // 0000000048F0: 923D3D3C
	s_add_u32 s82, s82, s61                                    // 0000000048F4: 80523D52
	v_mul_lo_u32 v7, v4, s82                                   // 0000000048F8: D2850007 0000A504
	v_add_u32_e32 v37, v6, v7                                  // 000000004900: 684A0F06
	v_readlane_b32 s82, v3, 4                                  // 000000004904: D2890052 00010903
	s_lshr_b32 s61, s82, 24                                    // 00000000490C: 8F3D9852
	s_and_b32 s82, s82, 0xffffff                               // 000000004910: 8652FF52 00FFFFFF
	s_mul_i32 s82, s82, s71                                    // 000000004918: 92524752
	s_mul_i32 s61, s60, s61                                    // 00000000491C: 923D3D3C
	s_add_u32 s82, s82, s61                                    // 000000004920: 80523D52
	v_mul_lo_u32 v6, v5, s82                                   // 000000004924: D2850006 0000A505
	v_readlane_b32 s82, v3, 5                                  // 00000000492C: D2890052 00010B03
	s_lshr_b32 s61, s82, 24                                    // 000000004934: 8F3D9852
	s_and_b32 s82, s82, 0xffffff                               // 000000004938: 8652FF52 00FFFFFF
	s_mul_i32 s82, s82, s71                                    // 000000004940: 92524752
	s_mul_i32 s61, s60, s61                                    // 000000004944: 923D3D3C
	s_add_u32 s82, s82, s61                                    // 000000004948: 80523D52
	v_mul_lo_u32 v7, v4, s82                                   // 00000000494C: D2850007 0000A504
	v_add_u32_e32 v38, v6, v7                                  // 000000004954: 684C0F06
	v_readlane_b32 s82, v3, 6                                  // 000000004958: D2890052 00010D03
	s_lshr_b32 s61, s82, 24                                    // 000000004960: 8F3D9852
	s_and_b32 s82, s82, 0xffffff                               // 000000004964: 8652FF52 00FFFFFF
	s_mul_i32 s82, s82, s71                                    // 00000000496C: 92524752
	s_mul_i32 s61, s60, s61                                    // 000000004970: 923D3D3C
	s_add_u32 s82, s82, s61                                    // 000000004974: 80523D52
	v_mul_lo_u32 v6, v5, s82                                   // 000000004978: D2850006 0000A505
	v_readlane_b32 s82, v3, 7                                  // 000000004980: D2890052 00010F03
	s_lshr_b32 s61, s82, 24                                    // 000000004988: 8F3D9852
	s_and_b32 s82, s82, 0xffffff                               // 00000000498C: 8652FF52 00FFFFFF
	s_mul_i32 s82, s82, s71                                    // 000000004994: 92524752
	s_mul_i32 s61, s60, s61                                    // 000000004998: 923D3D3C
	s_add_u32 s82, s82, s61                                    // 00000000499C: 80523D52
	v_mul_lo_u32 v7, v4, s82                                   // 0000000049A0: D2850007 0000A504
	v_add_u32_e32 v39, v6, v7                                  // 0000000049A8: 684E0F06
	v_and_b32_e32 v4, 31, v0                                   // 0000000049AC: 2608009F
	v_lshrrev_b32_e32 v4, 1, v4                                // 0000000049B0: 20080881
	s_cmp_eq_u32 s88, 0                                        // 0000000049B4: BF068058
	s_cselect_b32 s61, 2, 4                                    // 0000000049B8: 853D8482
	v_mul_lo_u32 v4, v4, s61                                   // 0000000049BC: D2850004 00007B04
	v_and_b32_e64 v5, v0, 1                                    // 0000000049C4: D1130005 00010300
	v_add_u32_e32 v4, v4, v5                                   // 0000000049CC: 68080B04
	v_lshlrev_b32_e32 v4, 2, v4                                // 0000000049D0: 24080882
	v_add_u32_e32 v36, v36, v4                                 // 0000000049D4: 68480924
	v_add_u32_e32 v37, v37, v4                                 // 0000000049D8: 684A0925
	v_add_u32_e32 v38, v38, v4                                 // 0000000049DC: 684C0926
	v_add_u32_e32 v39, v39, v4                                 // 0000000049E0: 684E0927
	s_waitcnt lgkmcnt(0)                                       // 0000000049E4: BF8CC07F
	s_barrier                                                  // 0000000049E8: BF8A0000
	ds_read_b32 v44, v21                                       // 0000000049EC: D86C0000 2C000015
	ds_read_b32 v45, v21 offset:64                             // 0000000049F4: D86C0040 2D000015
	ds_read_b32 v46, v21 offset:2176                           // 0000000049FC: D86C0880 2E000015
	ds_read_b32 v47, v21 offset:2240                           // 000000004A04: D86C08C0 2F000015
	ds_read_b32 v48, v21 offset:4352                           // 000000004A0C: D86C1100 30000015
	ds_read_b32 v49, v21 offset:4416                           // 000000004A14: D86C1140 31000015
	ds_read_b32 v50, v21 offset:6528                           // 000000004A1C: D86C1980 32000015
	ds_read_b32 v51, v21 offset:6592                           // 000000004A24: D86C19C0 33000015
	ds_read_b32 v52, v21 offset:8704                           // 000000004A2C: D86C2200 34000015
	ds_read_b32 v53, v21 offset:8768                           // 000000004A34: D86C2240 35000015
	ds_read_b32 v54, v21 offset:10880                          // 000000004A3C: D86C2A80 36000015
	ds_read_b32 v55, v21 offset:10944                          // 000000004A44: D86C2AC0 37000015
	ds_read_b32 v56, v21 offset:13056                          // 000000004A4C: D86C3300 38000015
	ds_read_b32 v57, v21 offset:13120                          // 000000004A54: D86C3340 39000015
	ds_read_b32 v58, v21 offset:15232                          // 000000004A5C: D86C3B80 3A000015
	ds_read_b32 v59, v21 offset:15296                          // 000000004A64: D86C3BC0 3B000015
	s_waitcnt lgkmcnt(0)                                       // 000000004A6C: BF8CC07F
	s_mov_b32 s36, -1                                          // 000000004A70: BEA400C1
	s_mov_b32 s37, -1                                          // 000000004A74: BEA500C1
	v_mov_b32_e32 v7, 0                                        // 000000004A78: 7E0E0280
	s_or_b32 s9, s9, 0x40000                                   // 000000004A7C: 8709FF09 00040000
	s_mov_b64 exec, s[36:37]                                   // 000000004A84: BEFE0124
	v_mov_b32_e32 v6, v36                                      // 000000004A88: 7E0C0324
	s_mov_b64 s[60:61], 0                                      // 000000004A8C: BEBC0180
	v_readlane_b32 s82, v3, 0                                  // 000000004A90: D2890052 00010103
	s_and_b32 s82, s82, 0xffffff                               // 000000004A98: 8652FF52 00FFFFFF
	s_cmp_lt_u32 s82, s66                                      // 000000004AA0: BF0A4252
	s_cselect_b32 s20, s36, s60                                // 000000004AA4: 85143C24
	v_readlane_b32 s82, v3, 1                                  // 000000004AA8: D2890052 00010303
	s_and_b32 s82, s82, 0xffffff                               // 000000004AB0: 8652FF52 00FFFFFF
	s_cmp_lt_u32 s82, s66                                      // 000000004AB8: BF0A4252
	s_cselect_b32 s21, s36, s60                                // 000000004ABC: 85153C24
	s_mov_b64 exec, s[20:21]                                   // 000000004AC0: BEFE0114
	buffer_store_dword v44, v6, s[8:11], 0 offen               // 000000004AC4: E0701000 80022C06
	buffer_store_dword v46, v6, s[8:11], 0 offen offset:128    // 000000004ACC: E0701080 80022E06
	buffer_store_dword v48, v6, s[8:11], 0 offen offset:256    // 000000004AD4: E0701100 80023006
	buffer_store_dword v50, v6, s[8:11], 0 offen offset:384    // 000000004ADC: E0701180 80023206
	s_mov_b64 exec, s[36:37]                                   // 000000004AE4: BEFE0124
	v_mov_b32_e32 v6, v37                                      // 000000004AE8: 7E0C0325
	s_mov_b64 s[60:61], 0                                      // 000000004AEC: BEBC0180
	v_readlane_b32 s82, v3, 2                                  // 000000004AF0: D2890052 00010503
	s_and_b32 s82, s82, 0xffffff                               // 000000004AF8: 8652FF52 00FFFFFF
	s_cmp_lt_u32 s82, s66                                      // 000000004B00: BF0A4252
	s_cselect_b32 s20, s36, s60                                // 000000004B04: 85143C24
	v_readlane_b32 s82, v3, 3                                  // 000000004B08: D2890052 00010703
	s_and_b32 s82, s82, 0xffffff                               // 000000004B10: 8652FF52 00FFFFFF
	s_cmp_lt_u32 s82, s66                                      // 000000004B18: BF0A4252
	s_cselect_b32 s21, s36, s60                                // 000000004B1C: 85153C24
	s_mov_b64 exec, s[20:21]                                   // 000000004B20: BEFE0114
	buffer_store_dword v45, v6, s[8:11], 0 offen               // 000000004B24: E0701000 80022D06
	buffer_store_dword v47, v6, s[8:11], 0 offen offset:128    // 000000004B2C: E0701080 80022F06
	buffer_store_dword v49, v6, s[8:11], 0 offen offset:256    // 000000004B34: E0701100 80023106
	buffer_store_dword v51, v6, s[8:11], 0 offen offset:384    // 000000004B3C: E0701180 80023306
	s_mov_b64 exec, s[36:37]                                   // 000000004B44: BEFE0124
	v_mov_b32_e32 v6, v38                                      // 000000004B48: 7E0C0326
	s_mov_b64 s[60:61], 0                                      // 000000004B4C: BEBC0180
	v_readlane_b32 s82, v3, 4                                  // 000000004B50: D2890052 00010903
	s_and_b32 s82, s82, 0xffffff                               // 000000004B58: 8652FF52 00FFFFFF
	s_cmp_lt_u32 s82, s66                                      // 000000004B60: BF0A4252
	s_cselect_b32 s20, s36, s60                                // 000000004B64: 85143C24
	v_readlane_b32 s82, v3, 5                                  // 000000004B68: D2890052 00010B03
	s_and_b32 s82, s82, 0xffffff                               // 000000004B70: 8652FF52 00FFFFFF
	s_cmp_lt_u32 s82, s66                                      // 000000004B78: BF0A4252
	s_cselect_b32 s21, s36, s60                                // 000000004B7C: 85153C24
	s_mov_b64 exec, s[20:21]                                   // 000000004B80: BEFE0114
	buffer_store_dword v52, v6, s[8:11], 0 offen               // 000000004B84: E0701000 80023406
	buffer_store_dword v54, v6, s[8:11], 0 offen offset:128    // 000000004B8C: E0701080 80023606
	buffer_store_dword v56, v6, s[8:11], 0 offen offset:256    // 000000004B94: E0701100 80023806
	buffer_store_dword v58, v6, s[8:11], 0 offen offset:384    // 000000004B9C: E0701180 80023A06
	s_mov_b64 exec, s[36:37]                                   // 000000004BA4: BEFE0124
	v_mov_b32_e32 v6, v39                                      // 000000004BA8: 7E0C0327
	s_mov_b64 s[60:61], 0                                      // 000000004BAC: BEBC0180
	v_readlane_b32 s82, v3, 6                                  // 000000004BB0: D2890052 00010D03
	s_and_b32 s82, s82, 0xffffff                               // 000000004BB8: 8652FF52 00FFFFFF
	s_cmp_lt_u32 s82, s66                                      // 000000004BC0: BF0A4252
	s_cselect_b32 s20, s36, s60                                // 000000004BC4: 85143C24
	v_readlane_b32 s82, v3, 7                                  // 000000004BC8: D2890052 00010F03
	s_and_b32 s82, s82, 0xffffff                               // 000000004BD0: 8652FF52 00FFFFFF
	s_cmp_lt_u32 s82, s66                                      // 000000004BD8: BF0A4252
	s_cselect_b32 s21, s36, s60                                // 000000004BDC: 85153C24
	s_mov_b64 exec, s[20:21]                                   // 000000004BE0: BEFE0114
	buffer_store_dword v53, v6, s[8:11], 0 offen               // 000000004BE4: E0701000 80023506
	buffer_store_dword v55, v6, s[8:11], 0 offen offset:128    // 000000004BEC: E0701080 80023706
	buffer_store_dword v57, v6, s[8:11], 0 offen offset:256    // 000000004BF4: E0701100 80023906
	buffer_store_dword v59, v6, s[8:11], 0 offen offset:384    // 000000004BFC: E0701180 80023B06
	s_mov_b64 exec, s[36:37]                                   // 000000004C04: BEFE0124
	s_branch label_149E                                        // 000000004C08: BF820C18

0000000000004c0c <label_0883>:
	ds_write_b64 v20, v[44:45]                                 // 000000004C0C: D89A0000 00002C14
	ds_write_b64 v20, v[48:49] offset:8704                     // 000000004C14: D89A2200 00003014
	ds_write_b64 v20, v[52:53] offset:2176                     // 000000004C1C: D89A0880 00003414
	ds_write_b64 v20, v[56:57] offset:10880                    // 000000004C24: D89A2A80 00003814
	ds_write_b64 v20, v[60:61] offset:4352                     // 000000004C2C: D89A1100 00003C14
	ds_write_b64 v20, v[64:65] offset:13056                    // 000000004C34: D89A3300 00004014
	ds_write_b64 v20, v[68:69] offset:6528                     // 000000004C3C: D89A1980 00004414
	ds_write_b64 v20, v[72:73] offset:15232                    // 000000004C44: D89A3B80 00004814
	v_lshrrev_b32_e32 v4, 5, v0                                // 000000004C4C: 20080085
	v_xor_b32_e32 v5, 1, v4                                    // 000000004C50: 2A0A0881
	s_mul_i32 s60, s65, 2                                      // 000000004C54: 923C8241
	s_cmp_eq_u32 s88, 0                                        // 000000004C58: BF068058
	s_cselect_b32 s61, 1, 4                                    // 000000004C5C: 853D8481
	s_mul_i32 s60, s61, s60                                    // 000000004C60: 923C3C3D
	v_readlane_b32 s82, v3, 0                                  // 000000004C64: D2890052 00010103
	s_lshr_b32 s61, s82, 24                                    // 000000004C6C: 8F3D9852
	s_and_b32 s82, s82, 0xffffff                               // 000000004C70: 8652FF52 00FFFFFF
	s_mul_i32 s82, s82, s71                                    // 000000004C78: 92524752
	s_mul_i32 s61, s60, s61                                    // 000000004C7C: 923D3D3C
	s_add_u32 s82, s82, s61                                    // 000000004C80: 80523D52
	v_mul_lo_u32 v6, v5, s82                                   // 000000004C84: D2850006 0000A505
	v_readlane_b32 s82, v3, 1                                  // 000000004C8C: D2890052 00010303
	s_lshr_b32 s61, s82, 24                                    // 000000004C94: 8F3D9852
	s_and_b32 s82, s82, 0xffffff                               // 000000004C98: 8652FF52 00FFFFFF
	s_mul_i32 s82, s82, s71                                    // 000000004CA0: 92524752
	s_mul_i32 s61, s60, s61                                    // 000000004CA4: 923D3D3C
	s_add_u32 s82, s82, s61                                    // 000000004CA8: 80523D52
	v_mul_lo_u32 v7, v4, s82                                   // 000000004CAC: D2850007 0000A504
	v_add_u32_e32 v36, v6, v7                                  // 000000004CB4: 68480F06
	v_readlane_b32 s82, v3, 2                                  // 000000004CB8: D2890052 00010503
	s_lshr_b32 s61, s82, 24                                    // 000000004CC0: 8F3D9852
	s_and_b32 s82, s82, 0xffffff                               // 000000004CC4: 8652FF52 00FFFFFF
	s_mul_i32 s82, s82, s71                                    // 000000004CCC: 92524752
	s_mul_i32 s61, s60, s61                                    // 000000004CD0: 923D3D3C
	s_add_u32 s82, s82, s61                                    // 000000004CD4: 80523D52
	v_mul_lo_u32 v6, v5, s82                                   // 000000004CD8: D2850006 0000A505
	v_readlane_b32 s82, v3, 3                                  // 000000004CE0: D2890052 00010703
	s_lshr_b32 s61, s82, 24                                    // 000000004CE8: 8F3D9852
	s_and_b32 s82, s82, 0xffffff                               // 000000004CEC: 8652FF52 00FFFFFF
	s_mul_i32 s82, s82, s71                                    // 000000004CF4: 92524752
	s_mul_i32 s61, s60, s61                                    // 000000004CF8: 923D3D3C
	s_add_u32 s82, s82, s61                                    // 000000004CFC: 80523D52
	v_mul_lo_u32 v7, v4, s82                                   // 000000004D00: D2850007 0000A504
	v_add_u32_e32 v37, v6, v7                                  // 000000004D08: 684A0F06
	v_readlane_b32 s82, v3, 4                                  // 000000004D0C: D2890052 00010903
	s_lshr_b32 s61, s82, 24                                    // 000000004D14: 8F3D9852
	s_and_b32 s82, s82, 0xffffff                               // 000000004D18: 8652FF52 00FFFFFF
	s_mul_i32 s82, s82, s71                                    // 000000004D20: 92524752
	s_mul_i32 s61, s60, s61                                    // 000000004D24: 923D3D3C
	s_add_u32 s82, s82, s61                                    // 000000004D28: 80523D52
	v_mul_lo_u32 v6, v5, s82                                   // 000000004D2C: D2850006 0000A505
	v_readlane_b32 s82, v3, 5                                  // 000000004D34: D2890052 00010B03
	s_lshr_b32 s61, s82, 24                                    // 000000004D3C: 8F3D9852
	s_and_b32 s82, s82, 0xffffff                               // 000000004D40: 8652FF52 00FFFFFF
	s_mul_i32 s82, s82, s71                                    // 000000004D48: 92524752
	s_mul_i32 s61, s60, s61                                    // 000000004D4C: 923D3D3C
	s_add_u32 s82, s82, s61                                    // 000000004D50: 80523D52
	v_mul_lo_u32 v7, v4, s82                                   // 000000004D54: D2850007 0000A504
	v_add_u32_e32 v38, v6, v7                                  // 000000004D5C: 684C0F06
	v_readlane_b32 s82, v3, 6                                  // 000000004D60: D2890052 00010D03
	s_lshr_b32 s61, s82, 24                                    // 000000004D68: 8F3D9852
	s_and_b32 s82, s82, 0xffffff                               // 000000004D6C: 8652FF52 00FFFFFF
	s_mul_i32 s82, s82, s71                                    // 000000004D74: 92524752
	s_mul_i32 s61, s60, s61                                    // 000000004D78: 923D3D3C
	s_add_u32 s82, s82, s61                                    // 000000004D7C: 80523D52
	v_mul_lo_u32 v6, v5, s82                                   // 000000004D80: D2850006 0000A505
	v_readlane_b32 s82, v3, 7                                  // 000000004D88: D2890052 00010F03
	s_lshr_b32 s61, s82, 24                                    // 000000004D90: 8F3D9852
	s_and_b32 s82, s82, 0xffffff                               // 000000004D94: 8652FF52 00FFFFFF
	s_mul_i32 s82, s82, s71                                    // 000000004D9C: 92524752
	s_mul_i32 s61, s60, s61                                    // 000000004DA0: 923D3D3C
	s_add_u32 s82, s82, s61                                    // 000000004DA4: 80523D52
	v_mul_lo_u32 v7, v4, s82                                   // 000000004DA8: D2850007 0000A504
	v_add_u32_e32 v39, v6, v7                                  // 000000004DB0: 684E0F06
	v_and_b32_e32 v4, 31, v0                                   // 000000004DB4: 2608009F
	v_lshrrev_b32_e32 v4, 1, v4                                // 000000004DB8: 20080881
	s_cmp_eq_u32 s88, 0                                        // 000000004DBC: BF068058
	s_cselect_b32 s61, 2, 4                                    // 000000004DC0: 853D8482
	v_mul_lo_u32 v4, v4, s61                                   // 000000004DC4: D2850004 00007B04
	v_and_b32_e64 v5, v0, 1                                    // 000000004DCC: D1130005 00010300
	v_add_u32_e32 v4, v4, v5                                   // 000000004DD4: 68080B04
	v_lshlrev_b32_e32 v4, 2, v4                                // 000000004DD8: 24080882
	v_add_u32_e32 v36, v36, v4                                 // 000000004DDC: 68480924
	v_add_u32_e32 v37, v37, v4                                 // 000000004DE0: 684A0925
	v_add_u32_e32 v38, v38, v4                                 // 000000004DE4: 684C0926
	v_add_u32_e32 v39, v39, v4                                 // 000000004DE8: 684E0927
	s_waitcnt lgkmcnt(0)                                       // 000000004DEC: BF8CC07F
	s_barrier                                                  // 000000004DF0: BF8A0000
	ds_read_b32 v44, v21                                       // 000000004DF4: D86C0000 2C000015
	ds_read_b32 v45, v21 offset:64                             // 000000004DFC: D86C0040 2D000015
	ds_read_b32 v48, v21 offset:2176                           // 000000004E04: D86C0880 30000015
	ds_read_b32 v49, v21 offset:2240                           // 000000004E0C: D86C08C0 31000015
	ds_read_b32 v52, v21 offset:4352                           // 000000004E14: D86C1100 34000015
	ds_read_b32 v53, v21 offset:4416                           // 000000004E1C: D86C1140 35000015
	ds_read_b32 v56, v21 offset:6528                           // 000000004E24: D86C1980 38000015
	ds_read_b32 v57, v21 offset:6592                           // 000000004E2C: D86C19C0 39000015
	ds_read_b32 v60, v21 offset:8704                           // 000000004E34: D86C2200 3C000015
	ds_read_b32 v61, v21 offset:8768                           // 000000004E3C: D86C2240 3D000015
	ds_read_b32 v64, v21 offset:10880                          // 000000004E44: D86C2A80 40000015
	ds_read_b32 v65, v21 offset:10944                          // 000000004E4C: D86C2AC0 41000015
	ds_read_b32 v68, v21 offset:13056                          // 000000004E54: D86C3300 44000015
	ds_read_b32 v69, v21 offset:13120                          // 000000004E5C: D86C3340 45000015
	ds_read_b32 v72, v21 offset:15232                          // 000000004E64: D86C3B80 48000015
	ds_read_b32 v73, v21 offset:15296                          // 000000004E6C: D86C3BC0 49000015
	s_waitcnt lgkmcnt(0)                                       // 000000004E74: BF8CC07F
	s_mov_b32 s36, -1                                          // 000000004E78: BEA400C1
	s_mov_b32 s37, -1                                          // 000000004E7C: BEA500C1
	v_mov_b32_e32 v7, 0                                        // 000000004E80: 7E0E0280
	s_mov_b64 exec, s[36:37]                                   // 000000004E84: BEFE0124
	v_mov_b32_e32 v6, v36                                      // 000000004E88: 7E0C0324
	s_mov_b64 s[60:61], 0                                      // 000000004E8C: BEBC0180
	v_readlane_b32 s82, v3, 0                                  // 000000004E90: D2890052 00010103
	s_and_b32 s82, s82, 0xffffff                               // 000000004E98: 8652FF52 00FFFFFF
	s_cmp_lt_u32 s82, s66                                      // 000000004EA0: BF0A4252
	s_cselect_b32 s20, s36, s60                                // 000000004EA4: 85143C24
	v_readlane_b32 s82, v3, 1                                  // 000000004EA8: D2890052 00010303
	s_and_b32 s82, s82, 0xffffff                               // 000000004EB0: 8652FF52 00FFFFFF
	s_cmp_lt_u32 s82, s66                                      // 000000004EB8: BF0A4252
	s_cselect_b32 s21, s36, s60                                // 000000004EBC: 85153C24
	s_mov_b64 exec, s[20:21]                                   // 000000004EC0: BEFE0114
	global_atomic_add_f32 v6, v44, s[8:9]                      // 000000004EC4: DD348000 00082C06
	global_atomic_add_f32 v6, v48, s[8:9] offset:256           // 000000004ECC: DD348100 00083006
	global_atomic_add_f32 v6, v52, s[8:9] offset:512           // 000000004ED4: DD348200 00083406
	global_atomic_add_f32 v6, v56, s[8:9] offset:768           // 000000004EDC: DD348300 00083806
	s_mov_b64 exec, s[36:37]                                   // 000000004EE4: BEFE0124
	v_mov_b32_e32 v6, v37                                      // 000000004EE8: 7E0C0325
	s_mov_b64 s[60:61], 0                                      // 000000004EEC: BEBC0180
	v_readlane_b32 s82, v3, 2                                  // 000000004EF0: D2890052 00010503
	s_and_b32 s82, s82, 0xffffff                               // 000000004EF8: 8652FF52 00FFFFFF
	s_cmp_lt_u32 s82, s66                                      // 000000004F00: BF0A4252
	s_cselect_b32 s20, s36, s60                                // 000000004F04: 85143C24
	v_readlane_b32 s82, v3, 3                                  // 000000004F08: D2890052 00010703
	s_and_b32 s82, s82, 0xffffff                               // 000000004F10: 8652FF52 00FFFFFF
	s_cmp_lt_u32 s82, s66                                      // 000000004F18: BF0A4252
	s_cselect_b32 s21, s36, s60                                // 000000004F1C: 85153C24
	s_mov_b64 exec, s[20:21]                                   // 000000004F20: BEFE0114
	global_atomic_add_f32 v6, v45, s[8:9]                      // 000000004F24: DD348000 00082D06
	global_atomic_add_f32 v6, v49, s[8:9] offset:256           // 000000004F2C: DD348100 00083106
	global_atomic_add_f32 v6, v53, s[8:9] offset:512           // 000000004F34: DD348200 00083506
	global_atomic_add_f32 v6, v57, s[8:9] offset:768           // 000000004F3C: DD348300 00083906
	s_mov_b64 exec, s[36:37]                                   // 000000004F44: BEFE0124
	v_mov_b32_e32 v6, v38                                      // 000000004F48: 7E0C0326
	s_mov_b64 s[60:61], 0                                      // 000000004F4C: BEBC0180
	v_readlane_b32 s82, v3, 4                                  // 000000004F50: D2890052 00010903
	s_and_b32 s82, s82, 0xffffff                               // 000000004F58: 8652FF52 00FFFFFF
	s_cmp_lt_u32 s82, s66                                      // 000000004F60: BF0A4252
	s_cselect_b32 s20, s36, s60                                // 000000004F64: 85143C24
	v_readlane_b32 s82, v3, 5                                  // 000000004F68: D2890052 00010B03
	s_and_b32 s82, s82, 0xffffff                               // 000000004F70: 8652FF52 00FFFFFF
	s_cmp_lt_u32 s82, s66                                      // 000000004F78: BF0A4252
	s_cselect_b32 s21, s36, s60                                // 000000004F7C: 85153C24
	s_mov_b64 exec, s[20:21]                                   // 000000004F80: BEFE0114
	global_atomic_add_f32 v6, v60, s[8:9]                      // 000000004F84: DD348000 00083C06
	global_atomic_add_f32 v6, v64, s[8:9] offset:256           // 000000004F8C: DD348100 00084006
	global_atomic_add_f32 v6, v68, s[8:9] offset:512           // 000000004F94: DD348200 00084406
	global_atomic_add_f32 v6, v72, s[8:9] offset:768           // 000000004F9C: DD348300 00084806
	s_mov_b64 exec, s[36:37]                                   // 000000004FA4: BEFE0124
	v_mov_b32_e32 v6, v39                                      // 000000004FA8: 7E0C0327
	s_mov_b64 s[60:61], 0                                      // 000000004FAC: BEBC0180
	v_readlane_b32 s82, v3, 6                                  // 000000004FB0: D2890052 00010D03
	s_and_b32 s82, s82, 0xffffff                               // 000000004FB8: 8652FF52 00FFFFFF
	s_cmp_lt_u32 s82, s66                                      // 000000004FC0: BF0A4252
	s_cselect_b32 s20, s36, s60                                // 000000004FC4: 85143C24
	v_readlane_b32 s82, v3, 7                                  // 000000004FC8: D2890052 00010F03
	s_and_b32 s82, s82, 0xffffff                               // 000000004FD0: 8652FF52 00FFFFFF
	s_cmp_lt_u32 s82, s66                                      // 000000004FD8: BF0A4252
	s_cselect_b32 s21, s36, s60                                // 000000004FDC: 85153C24
	s_mov_b64 exec, s[20:21]                                   // 000000004FE0: BEFE0114
	global_atomic_add_f32 v6, v61, s[8:9]                      // 000000004FE4: DD348000 00083D06
	global_atomic_add_f32 v6, v65, s[8:9] offset:256           // 000000004FEC: DD348100 00084106
	global_atomic_add_f32 v6, v69, s[8:9] offset:512           // 000000004FF4: DD348200 00084506
	global_atomic_add_f32 v6, v73, s[8:9] offset:768           // 000000004FFC: DD348300 00084906
	s_mov_b64 exec, s[36:37]                                   // 000000005004: BEFE0124
	ds_write_b64 v20, v[46:47]                                 // 000000005008: D89A0000 00002E14
	ds_write_b64 v20, v[50:51] offset:8704                     // 000000005010: D89A2200 00003214
	ds_write_b64 v20, v[54:55] offset:2176                     // 000000005018: D89A0880 00003614
	ds_write_b64 v20, v[58:59] offset:10880                    // 000000005020: D89A2A80 00003A14
	ds_write_b64 v20, v[62:63] offset:4352                     // 000000005028: D89A1100 00003E14
	ds_write_b64 v20, v[66:67] offset:13056                    // 000000005030: D89A3300 00004214
	ds_write_b64 v20, v[70:71] offset:6528                     // 000000005038: D89A1980 00004614
	ds_write_b64 v20, v[74:75] offset:15232                    // 000000005040: D89A3B80 00004A14
	s_waitcnt lgkmcnt(0)                                       // 000000005048: BF8CC07F
	s_barrier                                                  // 00000000504C: BF8A0000
	ds_read_b32 v46, v21                                       // 000000005050: D86C0000 2E000015
	ds_read_b32 v47, v21 offset:64                             // 000000005058: D86C0040 2F000015
	ds_read_b32 v50, v21 offset:2176                           // 000000005060: D86C0880 32000015
	ds_read_b32 v51, v21 offset:2240                           // 000000005068: D86C08C0 33000015
	ds_read_b32 v54, v21 offset:4352                           // 000000005070: D86C1100 36000015
	ds_read_b32 v55, v21 offset:4416                           // 000000005078: D86C1140 37000015
	ds_read_b32 v58, v21 offset:6528                           // 000000005080: D86C1980 3A000015
	ds_read_b32 v59, v21 offset:6592                           // 000000005088: D86C19C0 3B000015
	ds_read_b32 v62, v21 offset:8704                           // 000000005090: D86C2200 3E000015
	ds_read_b32 v63, v21 offset:8768                           // 000000005098: D86C2240 3F000015
	ds_read_b32 v66, v21 offset:10880                          // 0000000050A0: D86C2A80 42000015
	ds_read_b32 v67, v21 offset:10944                          // 0000000050A8: D86C2AC0 43000015
	ds_read_b32 v70, v21 offset:13056                          // 0000000050B0: D86C3300 46000015
	ds_read_b32 v71, v21 offset:13120                          // 0000000050B8: D86C3340 47000015
	ds_read_b32 v74, v21 offset:15232                          // 0000000050C0: D86C3B80 4A000015
	ds_read_b32 v75, v21 offset:15296                          // 0000000050C8: D86C3BC0 4B000015
	s_waitcnt lgkmcnt(0)                                       // 0000000050D0: BF8CC07F
	v_mov_b32_e32 v7, 0                                        // 0000000050D4: 7E0E0280
	s_mov_b64 exec, s[36:37]                                   // 0000000050D8: BEFE0124
	v_mov_b32_e32 v6, v36                                      // 0000000050DC: 7E0C0324
	s_mov_b64 s[60:61], 0                                      // 0000000050E0: BEBC0180
	v_readlane_b32 s82, v3, 0                                  // 0000000050E4: D2890052 00010103
	s_and_b32 s82, s82, 0xffffff                               // 0000000050EC: 8652FF52 00FFFFFF
	s_cmp_lt_u32 s82, s66                                      // 0000000050F4: BF0A4252
	s_cselect_b32 s20, s36, s60                                // 0000000050F8: 85143C24
	v_readlane_b32 s82, v3, 1                                  // 0000000050FC: D2890052 00010303
	s_and_b32 s82, s82, 0xffffff                               // 000000005104: 8652FF52 00FFFFFF
	s_cmp_lt_u32 s82, s66                                      // 00000000510C: BF0A4252
	s_cselect_b32 s21, s36, s60                                // 000000005110: 85153C24
	s_mov_b64 exec, s[20:21]                                   // 000000005114: BEFE0114
	global_atomic_add_f32 v6, v46, s[8:9] offset:8             // 000000005118: DD348008 00082E06
	global_atomic_add_f32 v6, v50, s[8:9] offset:264           // 000000005120: DD348108 00083206
	global_atomic_add_f32 v6, v54, s[8:9] offset:520           // 000000005128: DD348208 00083606
	global_atomic_add_f32 v6, v58, s[8:9] offset:776           // 000000005130: DD348308 00083A06
	s_mov_b64 exec, s[36:37]                                   // 000000005138: BEFE0124
	v_mov_b32_e32 v6, v37                                      // 00000000513C: 7E0C0325
	s_mov_b64 s[60:61], 0                                      // 000000005140: BEBC0180
	v_readlane_b32 s82, v3, 2                                  // 000000005144: D2890052 00010503
	s_and_b32 s82, s82, 0xffffff                               // 00000000514C: 8652FF52 00FFFFFF
	s_cmp_lt_u32 s82, s66                                      // 000000005154: BF0A4252
	s_cselect_b32 s20, s36, s60                                // 000000005158: 85143C24
	v_readlane_b32 s82, v3, 3                                  // 00000000515C: D2890052 00010703
	s_and_b32 s82, s82, 0xffffff                               // 000000005164: 8652FF52 00FFFFFF
	s_cmp_lt_u32 s82, s66                                      // 00000000516C: BF0A4252
	s_cselect_b32 s21, s36, s60                                // 000000005170: 85153C24
	s_mov_b64 exec, s[20:21]                                   // 000000005174: BEFE0114
	global_atomic_add_f32 v6, v47, s[8:9] offset:8             // 000000005178: DD348008 00082F06
	global_atomic_add_f32 v6, v51, s[8:9] offset:264           // 000000005180: DD348108 00083306
	global_atomic_add_f32 v6, v55, s[8:9] offset:520           // 000000005188: DD348208 00083706
	global_atomic_add_f32 v6, v59, s[8:9] offset:776           // 000000005190: DD348308 00083B06
	s_mov_b64 exec, s[36:37]                                   // 000000005198: BEFE0124
	v_mov_b32_e32 v6, v38                                      // 00000000519C: 7E0C0326
	s_mov_b64 s[60:61], 0                                      // 0000000051A0: BEBC0180
	v_readlane_b32 s82, v3, 4                                  // 0000000051A4: D2890052 00010903
	s_and_b32 s82, s82, 0xffffff                               // 0000000051AC: 8652FF52 00FFFFFF
	s_cmp_lt_u32 s82, s66                                      // 0000000051B4: BF0A4252
	s_cselect_b32 s20, s36, s60                                // 0000000051B8: 85143C24
	v_readlane_b32 s82, v3, 5                                  // 0000000051BC: D2890052 00010B03
	s_and_b32 s82, s82, 0xffffff                               // 0000000051C4: 8652FF52 00FFFFFF
	s_cmp_lt_u32 s82, s66                                      // 0000000051CC: BF0A4252
	s_cselect_b32 s21, s36, s60                                // 0000000051D0: 85153C24
	s_mov_b64 exec, s[20:21]                                   // 0000000051D4: BEFE0114
	global_atomic_add_f32 v6, v62, s[8:9] offset:8             // 0000000051D8: DD348008 00083E06
	global_atomic_add_f32 v6, v66, s[8:9] offset:264           // 0000000051E0: DD348108 00084206
	global_atomic_add_f32 v6, v70, s[8:9] offset:520           // 0000000051E8: DD348208 00084606
	global_atomic_add_f32 v6, v74, s[8:9] offset:776           // 0000000051F0: DD348308 00084A06
	s_mov_b64 exec, s[36:37]                                   // 0000000051F8: BEFE0124
	v_mov_b32_e32 v6, v39                                      // 0000000051FC: 7E0C0327
	s_mov_b64 s[60:61], 0                                      // 000000005200: BEBC0180
	v_readlane_b32 s82, v3, 6                                  // 000000005204: D2890052 00010D03
	s_and_b32 s82, s82, 0xffffff                               // 00000000520C: 8652FF52 00FFFFFF
	s_cmp_lt_u32 s82, s66                                      // 000000005214: BF0A4252
	s_cselect_b32 s20, s36, s60                                // 000000005218: 85143C24
	v_readlane_b32 s82, v3, 7                                  // 00000000521C: D2890052 00010F03
	s_and_b32 s82, s82, 0xffffff                               // 000000005224: 8652FF52 00FFFFFF
	s_cmp_lt_u32 s82, s66                                      // 00000000522C: BF0A4252
	s_cselect_b32 s21, s36, s60                                // 000000005230: 85153C24
	s_mov_b64 exec, s[20:21]                                   // 000000005234: BEFE0114
	global_atomic_add_f32 v6, v63, s[8:9] offset:8             // 000000005238: DD348008 00083F06
	global_atomic_add_f32 v6, v67, s[8:9] offset:264           // 000000005240: DD348108 00084306
	global_atomic_add_f32 v6, v71, s[8:9] offset:520           // 000000005248: DD348208 00084706
	global_atomic_add_f32 v6, v75, s[8:9] offset:776           // 000000005250: DD348308 00084B06
	s_mov_b64 exec, s[36:37]                                   // 000000005258: BEFE0124
	ds_write_b64 v20, v[76:77]                                 // 00000000525C: D89A0000 00004C14
	ds_write_b64 v20, v[80:81] offset:8704                     // 000000005264: D89A2200 00005014
	ds_write_b64 v20, v[84:85] offset:2176                     // 00000000526C: D89A0880 00005414
	ds_write_b64 v20, v[88:89] offset:10880                    // 000000005274: D89A2A80 00005814
	ds_write_b64 v20, v[92:93] offset:4352                     // 00000000527C: D89A1100 00005C14
	ds_write_b64 v20, v[96:97] offset:13056                    // 000000005284: D89A3300 00006014
	ds_write_b64 v20, v[100:101] offset:6528                   // 00000000528C: D89A1980 00006414
	ds_write_b64 v20, v[104:105] offset:15232                  // 000000005294: D89A3B80 00006814
	s_waitcnt lgkmcnt(0)                                       // 00000000529C: BF8CC07F
	s_barrier                                                  // 0000000052A0: BF8A0000
	ds_read_b32 v76, v21                                       // 0000000052A4: D86C0000 4C000015
	ds_read_b32 v77, v21 offset:64                             // 0000000052AC: D86C0040 4D000015
	ds_read_b32 v80, v21 offset:2176                           // 0000000052B4: D86C0880 50000015
	ds_read_b32 v81, v21 offset:2240                           // 0000000052BC: D86C08C0 51000015
	ds_read_b32 v84, v21 offset:4352                           // 0000000052C4: D86C1100 54000015
	ds_read_b32 v85, v21 offset:4416                           // 0000000052CC: D86C1140 55000015
	ds_read_b32 v88, v21 offset:6528                           // 0000000052D4: D86C1980 58000015
	ds_read_b32 v89, v21 offset:6592                           // 0000000052DC: D86C19C0 59000015
	ds_read_b32 v92, v21 offset:8704                           // 0000000052E4: D86C2200 5C000015
	ds_read_b32 v93, v21 offset:8768                           // 0000000052EC: D86C2240 5D000015
	ds_read_b32 v96, v21 offset:10880                          // 0000000052F4: D86C2A80 60000015
	ds_read_b32 v97, v21 offset:10944                          // 0000000052FC: D86C2AC0 61000015
	ds_read_b32 v100, v21 offset:13056                         // 000000005304: D86C3300 64000015
	ds_read_b32 v101, v21 offset:13120                         // 00000000530C: D86C3340 65000015
	ds_read_b32 v104, v21 offset:15232                         // 000000005314: D86C3B80 68000015
	ds_read_b32 v105, v21 offset:15296                         // 00000000531C: D86C3BC0 69000015
	s_mul_i32 s60, s65, 4                                      // 000000005324: 923C8441
	s_add_u32 s8, s60, s8                                      // 000000005328: 8008083C
	s_addc_u32 s9, 0, s9                                       // 00000000532C: 82090980
	s_waitcnt lgkmcnt(0)                                       // 000000005330: BF8CC07F
	v_mov_b32_e32 v7, 0                                        // 000000005334: 7E0E0280
	s_mov_b64 exec, s[36:37]                                   // 000000005338: BEFE0124
	v_mov_b32_e32 v6, v36                                      // 00000000533C: 7E0C0324
	s_mov_b64 s[60:61], 0                                      // 000000005340: BEBC0180
	v_readlane_b32 s82, v3, 0                                  // 000000005344: D2890052 00010103
	s_and_b32 s82, s82, 0xffffff                               // 00000000534C: 8652FF52 00FFFFFF
	s_cmp_lt_u32 s82, s66                                      // 000000005354: BF0A4252
	s_cselect_b32 s20, s36, s60                                // 000000005358: 85143C24
	v_readlane_b32 s82, v3, 1                                  // 00000000535C: D2890052 00010303
	s_and_b32 s82, s82, 0xffffff                               // 000000005364: 8652FF52 00FFFFFF
	s_cmp_lt_u32 s82, s66                                      // 00000000536C: BF0A4252
	s_cselect_b32 s21, s36, s60                                // 000000005370: 85153C24
	s_mov_b64 exec, s[20:21]                                   // 000000005374: BEFE0114
	global_atomic_add_f32 v6, v76, s[8:9]                      // 000000005378: DD348000 00084C06
	global_atomic_add_f32 v6, v80, s[8:9] offset:256           // 000000005380: DD348100 00085006
	global_atomic_add_f32 v6, v84, s[8:9] offset:512           // 000000005388: DD348200 00085406
	global_atomic_add_f32 v6, v88, s[8:9] offset:768           // 000000005390: DD348300 00085806
	s_mov_b64 exec, s[36:37]                                   // 000000005398: BEFE0124
	v_mov_b32_e32 v6, v37                                      // 00000000539C: 7E0C0325
	s_mov_b64 s[60:61], 0                                      // 0000000053A0: BEBC0180
	v_readlane_b32 s82, v3, 2                                  // 0000000053A4: D2890052 00010503
	s_and_b32 s82, s82, 0xffffff                               // 0000000053AC: 8652FF52 00FFFFFF
	s_cmp_lt_u32 s82, s66                                      // 0000000053B4: BF0A4252
	s_cselect_b32 s20, s36, s60                                // 0000000053B8: 85143C24
	v_readlane_b32 s82, v3, 3                                  // 0000000053BC: D2890052 00010703
	s_and_b32 s82, s82, 0xffffff                               // 0000000053C4: 8652FF52 00FFFFFF
	s_cmp_lt_u32 s82, s66                                      // 0000000053CC: BF0A4252
	s_cselect_b32 s21, s36, s60                                // 0000000053D0: 85153C24
	s_mov_b64 exec, s[20:21]                                   // 0000000053D4: BEFE0114
	global_atomic_add_f32 v6, v77, s[8:9]                      // 0000000053D8: DD348000 00084D06
	global_atomic_add_f32 v6, v81, s[8:9] offset:256           // 0000000053E0: DD348100 00085106
	global_atomic_add_f32 v6, v85, s[8:9] offset:512           // 0000000053E8: DD348200 00085506
	global_atomic_add_f32 v6, v89, s[8:9] offset:768           // 0000000053F0: DD348300 00085906
	s_mov_b64 exec, s[36:37]                                   // 0000000053F8: BEFE0124
	v_mov_b32_e32 v6, v38                                      // 0000000053FC: 7E0C0326
	s_mov_b64 s[60:61], 0                                      // 000000005400: BEBC0180
	v_readlane_b32 s82, v3, 4                                  // 000000005404: D2890052 00010903
	s_and_b32 s82, s82, 0xffffff                               // 00000000540C: 8652FF52 00FFFFFF
	s_cmp_lt_u32 s82, s66                                      // 000000005414: BF0A4252
	s_cselect_b32 s20, s36, s60                                // 000000005418: 85143C24
	v_readlane_b32 s82, v3, 5                                  // 00000000541C: D2890052 00010B03
	s_and_b32 s82, s82, 0xffffff                               // 000000005424: 8652FF52 00FFFFFF
	s_cmp_lt_u32 s82, s66                                      // 00000000542C: BF0A4252
	s_cselect_b32 s21, s36, s60                                // 000000005430: 85153C24
	s_mov_b64 exec, s[20:21]                                   // 000000005434: BEFE0114
	global_atomic_add_f32 v6, v92, s[8:9]                      // 000000005438: DD348000 00085C06
	global_atomic_add_f32 v6, v96, s[8:9] offset:256           // 000000005440: DD348100 00086006
	global_atomic_add_f32 v6, v100, s[8:9] offset:512          // 000000005448: DD348200 00086406
	global_atomic_add_f32 v6, v104, s[8:9] offset:768          // 000000005450: DD348300 00086806
	s_mov_b64 exec, s[36:37]                                   // 000000005458: BEFE0124
	v_mov_b32_e32 v6, v39                                      // 00000000545C: 7E0C0327
	s_mov_b64 s[60:61], 0                                      // 000000005460: BEBC0180
	v_readlane_b32 s82, v3, 6                                  // 000000005464: D2890052 00010D03
	s_and_b32 s82, s82, 0xffffff                               // 00000000546C: 8652FF52 00FFFFFF
	s_cmp_lt_u32 s82, s66                                      // 000000005474: BF0A4252
	s_cselect_b32 s20, s36, s60                                // 000000005478: 85143C24
	v_readlane_b32 s82, v3, 7                                  // 00000000547C: D2890052 00010F03
	s_and_b32 s82, s82, 0xffffff                               // 000000005484: 8652FF52 00FFFFFF
	s_cmp_lt_u32 s82, s66                                      // 00000000548C: BF0A4252
	s_cselect_b32 s21, s36, s60                                // 000000005490: 85153C24
	s_mov_b64 exec, s[20:21]                                   // 000000005494: BEFE0114
	global_atomic_add_f32 v6, v93, s[8:9]                      // 000000005498: DD348000 00085D06
	global_atomic_add_f32 v6, v97, s[8:9] offset:256           // 0000000054A0: DD348100 00086106
	global_atomic_add_f32 v6, v101, s[8:9] offset:512          // 0000000054A8: DD348200 00086506
	global_atomic_add_f32 v6, v105, s[8:9] offset:768          // 0000000054B0: DD348300 00086906
	s_mov_b64 exec, s[36:37]                                   // 0000000054B8: BEFE0124
	ds_write_b64 v20, v[78:79]                                 // 0000000054BC: D89A0000 00004E14
	ds_write_b64 v20, v[82:83] offset:8704                     // 0000000054C4: D89A2200 00005214
	ds_write_b64 v20, v[86:87] offset:2176                     // 0000000054CC: D89A0880 00005614
	ds_write_b64 v20, v[90:91] offset:10880                    // 0000000054D4: D89A2A80 00005A14
	ds_write_b64 v20, v[94:95] offset:4352                     // 0000000054DC: D89A1100 00005E14
	ds_write_b64 v20, v[98:99] offset:13056                    // 0000000054E4: D89A3300 00006214
	ds_write_b64 v20, v[102:103] offset:6528                   // 0000000054EC: D89A1980 00006614
	ds_write_b64 v20, v[106:107] offset:15232                  // 0000000054F4: D89A3B80 00006A14
	s_waitcnt lgkmcnt(0)                                       // 0000000054FC: BF8CC07F
	s_barrier                                                  // 000000005500: BF8A0000
	ds_read_b32 v78, v21                                       // 000000005504: D86C0000 4E000015
	ds_read_b32 v79, v21 offset:64                             // 00000000550C: D86C0040 4F000015
	ds_read_b32 v82, v21 offset:2176                           // 000000005514: D86C0880 52000015
	ds_read_b32 v83, v21 offset:2240                           // 00000000551C: D86C08C0 53000015
	ds_read_b32 v86, v21 offset:4352                           // 000000005524: D86C1100 56000015
	ds_read_b32 v87, v21 offset:4416                           // 00000000552C: D86C1140 57000015
	ds_read_b32 v90, v21 offset:6528                           // 000000005534: D86C1980 5A000015
	ds_read_b32 v91, v21 offset:6592                           // 00000000553C: D86C19C0 5B000015
	ds_read_b32 v94, v21 offset:8704                           // 000000005544: D86C2200 5E000015
	ds_read_b32 v95, v21 offset:8768                           // 00000000554C: D86C2240 5F000015
	ds_read_b32 v98, v21 offset:10880                          // 000000005554: D86C2A80 62000015
	ds_read_b32 v99, v21 offset:10944                          // 00000000555C: D86C2AC0 63000015
	ds_read_b32 v102, v21 offset:13056                         // 000000005564: D86C3300 66000015
	ds_read_b32 v103, v21 offset:13120                         // 00000000556C: D86C3340 67000015
	ds_read_b32 v106, v21 offset:15232                         // 000000005574: D86C3B80 6A000015
	ds_read_b32 v107, v21 offset:15296                         // 00000000557C: D86C3BC0 6B000015
	s_waitcnt lgkmcnt(0)                                       // 000000005584: BF8CC07F
	v_mov_b32_e32 v7, 0                                        // 000000005588: 7E0E0280
	s_mov_b64 exec, s[36:37]                                   // 00000000558C: BEFE0124
	v_mov_b32_e32 v6, v36                                      // 000000005590: 7E0C0324
	s_mov_b64 s[60:61], 0                                      // 000000005594: BEBC0180
	v_readlane_b32 s82, v3, 0                                  // 000000005598: D2890052 00010103
	s_and_b32 s82, s82, 0xffffff                               // 0000000055A0: 8652FF52 00FFFFFF
	s_cmp_lt_u32 s82, s66                                      // 0000000055A8: BF0A4252
	s_cselect_b32 s20, s36, s60                                // 0000000055AC: 85143C24
	v_readlane_b32 s82, v3, 1                                  // 0000000055B0: D2890052 00010303
	s_and_b32 s82, s82, 0xffffff                               // 0000000055B8: 8652FF52 00FFFFFF
	s_cmp_lt_u32 s82, s66                                      // 0000000055C0: BF0A4252
	s_cselect_b32 s21, s36, s60                                // 0000000055C4: 85153C24
	s_mov_b64 exec, s[20:21]                                   // 0000000055C8: BEFE0114
	global_atomic_add_f32 v6, v78, s[8:9] offset:8             // 0000000055CC: DD348008 00084E06
	global_atomic_add_f32 v6, v82, s[8:9] offset:264           // 0000000055D4: DD348108 00085206
	global_atomic_add_f32 v6, v86, s[8:9] offset:520           // 0000000055DC: DD348208 00085606
	global_atomic_add_f32 v6, v90, s[8:9] offset:776           // 0000000055E4: DD348308 00085A06
	s_mov_b64 exec, s[36:37]                                   // 0000000055EC: BEFE0124
	v_mov_b32_e32 v6, v37                                      // 0000000055F0: 7E0C0325
	s_mov_b64 s[60:61], 0                                      // 0000000055F4: BEBC0180
	v_readlane_b32 s82, v3, 2                                  // 0000000055F8: D2890052 00010503
	s_and_b32 s82, s82, 0xffffff                               // 000000005600: 8652FF52 00FFFFFF
	s_cmp_lt_u32 s82, s66                                      // 000000005608: BF0A4252
	s_cselect_b32 s20, s36, s60                                // 00000000560C: 85143C24
	v_readlane_b32 s82, v3, 3                                  // 000000005610: D2890052 00010703
	s_and_b32 s82, s82, 0xffffff                               // 000000005618: 8652FF52 00FFFFFF
	s_cmp_lt_u32 s82, s66                                      // 000000005620: BF0A4252
	s_cselect_b32 s21, s36, s60                                // 000000005624: 85153C24
	s_mov_b64 exec, s[20:21]                                   // 000000005628: BEFE0114
	global_atomic_add_f32 v6, v79, s[8:9] offset:8             // 00000000562C: DD348008 00084F06
	global_atomic_add_f32 v6, v83, s[8:9] offset:264           // 000000005634: DD348108 00085306
	global_atomic_add_f32 v6, v87, s[8:9] offset:520           // 00000000563C: DD348208 00085706
	global_atomic_add_f32 v6, v91, s[8:9] offset:776           // 000000005644: DD348308 00085B06
	s_mov_b64 exec, s[36:37]                                   // 00000000564C: BEFE0124
	v_mov_b32_e32 v6, v38                                      // 000000005650: 7E0C0326
	s_mov_b64 s[60:61], 0                                      // 000000005654: BEBC0180
	v_readlane_b32 s82, v3, 4                                  // 000000005658: D2890052 00010903
	s_and_b32 s82, s82, 0xffffff                               // 000000005660: 8652FF52 00FFFFFF
	s_cmp_lt_u32 s82, s66                                      // 000000005668: BF0A4252
	s_cselect_b32 s20, s36, s60                                // 00000000566C: 85143C24
	v_readlane_b32 s82, v3, 5                                  // 000000005670: D2890052 00010B03
	s_and_b32 s82, s82, 0xffffff                               // 000000005678: 8652FF52 00FFFFFF
	s_cmp_lt_u32 s82, s66                                      // 000000005680: BF0A4252
	s_cselect_b32 s21, s36, s60                                // 000000005684: 85153C24
	s_mov_b64 exec, s[20:21]                                   // 000000005688: BEFE0114
	global_atomic_add_f32 v6, v94, s[8:9] offset:8             // 00000000568C: DD348008 00085E06
	global_atomic_add_f32 v6, v98, s[8:9] offset:264           // 000000005694: DD348108 00086206
	global_atomic_add_f32 v6, v102, s[8:9] offset:520          // 00000000569C: DD348208 00086606
	global_atomic_add_f32 v6, v106, s[8:9] offset:776          // 0000000056A4: DD348308 00086A06
	s_mov_b64 exec, s[36:37]                                   // 0000000056AC: BEFE0124
	v_mov_b32_e32 v6, v39                                      // 0000000056B0: 7E0C0327
	s_mov_b64 s[60:61], 0                                      // 0000000056B4: BEBC0180
	v_readlane_b32 s82, v3, 6                                  // 0000000056B8: D2890052 00010D03
	s_and_b32 s82, s82, 0xffffff                               // 0000000056C0: 8652FF52 00FFFFFF
	s_cmp_lt_u32 s82, s66                                      // 0000000056C8: BF0A4252
	s_cselect_b32 s20, s36, s60                                // 0000000056CC: 85143C24
	v_readlane_b32 s82, v3, 7                                  // 0000000056D0: D2890052 00010F03
	s_and_b32 s82, s82, 0xffffff                               // 0000000056D8: 8652FF52 00FFFFFF
	s_cmp_lt_u32 s82, s66                                      // 0000000056E0: BF0A4252
	s_cselect_b32 s21, s36, s60                                // 0000000056E4: 85153C24
	s_mov_b64 exec, s[20:21]                                   // 0000000056E8: BEFE0114
	global_atomic_add_f32 v6, v95, s[8:9] offset:8             // 0000000056EC: DD348008 00085F06
	global_atomic_add_f32 v6, v99, s[8:9] offset:264           // 0000000056F4: DD348108 00086306
	global_atomic_add_f32 v6, v103, s[8:9] offset:520          // 0000000056FC: DD348208 00086706
	global_atomic_add_f32 v6, v107, s[8:9] offset:776          // 000000005704: DD348308 00086B06
	s_mov_b64 exec, s[36:37]                                   // 00000000570C: BEFE0124
	s_branch label_149E                                        // 000000005710: BF820956

0000000000005714 <label_0B48>:
	s_waitcnt vmcnt(6) lgkmcnt(0)                              // 000000005714: BF8C0076
	s_barrier                                                  // 000000005718: BF8A0000
	v_mfma_f32_16x16x32_fp8_fp8 v[44:47], a[32:33], a[0:1], v[44:47]// 00000000571C: D3F3002C 1CB20120
	buffer_load_dwordx4 a[64:67], v40, s[84:87], 0 offen       // 000000005724: E05C1000 80954028
	v_mfma_f32_16x16x32_fp8_fp8 v[44:47], a[34:35], a[2:3], v[44:47]// 00000000572C: D3F3002C 1CB20522
	v_mfma_f32_16x16x32_fp8_fp8 v[44:47], a[36:37], a[4:5], v[44:47]// 000000005734: D3F3002C 1CB20924
	v_mfma_f32_16x16x32_fp8_fp8 v[44:47], a[38:39], a[6:7], v[44:47]// 00000000573C: D3F3002C 1CB20D26
	v_mfma_f32_16x16x32_fp8_fp8 v[48:51], a[32:33], a[8:9], v[48:51]// 000000005744: D3F30030 1CC21120
	buffer_load_dwordx4 a[68:71], v40, s[84:87], 0 offen offset:1024// 00000000574C: E05C1400 80954428
	v_mfma_f32_16x16x32_fp8_fp8 v[48:51], a[34:35], a[10:11], v[48:51]// 000000005754: D3F30030 1CC21522
	v_mfma_f32_16x16x32_fp8_fp8 v[48:51], a[36:37], a[12:13], v[48:51]// 00000000575C: D3F30030 1CC21924
	v_mfma_f32_16x16x32_fp8_fp8 v[48:51], a[38:39], a[14:15], v[48:51]// 000000005764: D3F30030 1CC21D26
	s_waitcnt vmcnt(6)                                         // 00000000576C: BF8C0F76
	v_mfma_f32_16x16x32_fp8_fp8 v[52:55], a[40:41], a[0:1], v[52:55]// 000000005770: D3F30034 1CD20128
	buffer_load_dwordx4 a[72:75], v41, s[84:87], 0 offen       // 000000005778: E05C1000 80954829
	v_mfma_f32_16x16x32_fp8_fp8 v[52:55], a[42:43], a[2:3], v[52:55]// 000000005780: D3F30034 1CD2052A
	v_mfma_f32_16x16x32_fp8_fp8 v[52:55], a[44:45], a[4:5], v[52:55]// 000000005788: D3F30034 1CD2092C
	v_mfma_f32_16x16x32_fp8_fp8 v[52:55], a[46:47], a[6:7], v[52:55]// 000000005790: D3F30034 1CD20D2E
	v_mfma_f32_16x16x32_fp8_fp8 v[56:59], a[40:41], a[8:9], v[56:59]// 000000005798: D3F30038 1CE21128
	buffer_load_dwordx4 a[76:79], v41, s[84:87], 0 offen offset:1024// 0000000057A0: E05C1400 80954C29
	v_mfma_f32_16x16x32_fp8_fp8 v[56:59], a[42:43], a[10:11], v[56:59]// 0000000057A8: D3F30038 1CE2152A
	v_mfma_f32_16x16x32_fp8_fp8 v[56:59], a[44:45], a[12:13], v[56:59]// 0000000057B0: D3F30038 1CE2192C
	v_mfma_f32_16x16x32_fp8_fp8 v[56:59], a[46:47], a[14:15], v[56:59]// 0000000057B8: D3F30038 1CE21D2E
	s_waitcnt vmcnt(6)                                         // 0000000057C0: BF8C0F76
	v_mfma_f32_16x16x32_fp8_fp8 v[60:63], a[48:49], a[0:1], v[60:63]// 0000000057C4: D3F3003C 1CF20130
	buffer_load_dwordx4 a[80:83], v42, s[84:87], 0 offen       // 0000000057CC: E05C1000 8095502A
	v_mfma_f32_16x16x32_fp8_fp8 v[60:63], a[50:51], a[2:3], v[60:63]// 0000000057D4: D3F3003C 1CF20532
	v_mfma_f32_16x16x32_fp8_fp8 v[60:63], a[52:53], a[4:5], v[60:63]// 0000000057DC: D3F3003C 1CF20934
	v_mfma_f32_16x16x32_fp8_fp8 v[60:63], a[54:55], a[6:7], v[60:63]// 0000000057E4: D3F3003C 1CF20D36
	v_mfma_f32_16x16x32_fp8_fp8 v[64:67], a[48:49], a[8:9], v[64:67]// 0000000057EC: D3F30040 1D021130
	buffer_load_dwordx4 a[84:87], v42, s[84:87], 0 offen offset:1024// 0000000057F4: E05C1400 8095542A
	v_mfma_f32_16x16x32_fp8_fp8 v[64:67], a[50:51], a[10:11], v[64:67]// 0000000057FC: D3F30040 1D021532
	v_mfma_f32_16x16x32_fp8_fp8 v[64:67], a[52:53], a[12:13], v[64:67]// 000000005804: D3F30040 1D021934
	v_mfma_f32_16x16x32_fp8_fp8 v[64:67], a[54:55], a[14:15], v[64:67]// 00000000580C: D3F30040 1D021D36
	s_waitcnt vmcnt(6)                                         // 000000005814: BF8C0F76
	v_mfma_f32_16x16x32_fp8_fp8 v[68:71], a[56:57], a[0:1], v[68:71]// 000000005818: D3F30044 1D120138
	buffer_load_dwordx4 a[88:91], v43, s[84:87], 0 offen       // 000000005820: E05C1000 8095582B
	v_mfma_f32_16x16x32_fp8_fp8 v[68:71], a[58:59], a[2:3], v[68:71]// 000000005828: D3F30044 1D12053A
	v_mfma_f32_16x16x32_fp8_fp8 v[68:71], a[60:61], a[4:5], v[68:71]// 000000005830: D3F30044 1D12093C
	v_mfma_f32_16x16x32_fp8_fp8 v[68:71], a[62:63], a[6:7], v[68:71]// 000000005838: D3F30044 1D120D3E
	v_mfma_f32_16x16x32_fp8_fp8 v[72:75], a[56:57], a[8:9], v[72:75]// 000000005840: D3F30048 1D221138
	buffer_load_dwordx4 a[92:95], v43, s[84:87], 0 offen offset:1024// 000000005848: E05C1400 80955C2B
	buffer_load_dword v36, s[20:23], 0 offen lds               // 000000005850: E0511000 80050024
	s_add_u32 m0, 0x100, s48                                   // 000000005858: 807C30FF 00000100
	v_mfma_f32_16x16x32_fp8_fp8 v[72:75], a[58:59], a[10:11], v[72:75]// 000000005860: D3F30048 1D22153A
	s_add_u32 s60, 0x80, s80                                   // 000000005868: 803C50FF 00000080
	s_cmp_lt_u32 s60, s81                                      // 000000005870: BF0A513C
	s_cselect_b32 s83, s83, 0                                  // 000000005874: 85538053
	v_mfma_f32_16x16x32_fp8_fp8 v[72:75], a[60:61], a[12:13], v[72:75]// 000000005878: D3F30048 1D22193C
	buffer_load_dword v37, s[20:23], 0 offen lds               // 000000005880: E0511000 80050025
	s_add_u32 m0, 0x200, s48                                   // 000000005888: 807C30FF 00000200
	v_mfma_f32_16x16x32_fp8_fp8 v[72:75], a[62:63], a[14:15], v[72:75]// 000000005890: D3F30048 1D221D3E
	buffer_load_dword v38, s[20:23], 0 offen lds               // 000000005898: E0511000 80050026
	s_add_u32 m0, 0x300, s48                                   // 0000000058A0: 807C30FF 00000300
	buffer_load_dword v39, s[20:23], 0 offen lds               // 0000000058A8: E0511000 80050027
	s_add_u32 m0, 0, s49                                       // 0000000058B0: 807C3180
	s_waitcnt vmcnt(4)                                         // 0000000058B4: BF8C0F74
	v_mfma_f32_16x16x32_fp8_fp8 v[76:79], a[64:65], a[0:1], v[76:79]// 0000000058B8: D3F3004C 1D320140
	buffer_load_dwordx4 a[32:35], v40, s[24:27], 0 offen       // 0000000058C0: E05C1000 80862028
	v_mfma_f32_16x16x32_fp8_fp8 v[76:79], a[66:67], a[2:3], v[76:79]// 0000000058C8: D3F3004C 1D320542
	v_mfma_f32_16x16x32_fp8_fp8 v[76:79], a[68:69], a[4:5], v[76:79]// 0000000058D0: D3F3004C 1D320944
	ds_read_b128 a[16:19], v2 offset:4224                      // 0000000058D8: DBFE1080 10000002
	ds_read_b128 a[20:23], v2 offset:4288                      // 0000000058E0: DBFE10C0 14000002
	v_mfma_f32_16x16x32_fp8_fp8 v[76:79], a[70:71], a[6:7], v[76:79]// 0000000058E8: D3F3004C 1D320D46
	v_mfma_f32_16x16x32_fp8_fp8 v[84:87], a[72:73], a[0:1], v[84:87]// 0000000058F0: D3F30054 1D520148
	buffer_load_dwordx4 a[36:39], v40, s[24:27], 0 offen offset:1024// 0000000058F8: E05C1400 80862428
	v_mfma_f32_16x16x32_fp8_fp8 v[84:87], a[74:75], a[2:3], v[84:87]// 000000005900: D3F30054 1D52054A
	v_mfma_f32_16x16x32_fp8_fp8 v[84:87], a[76:77], a[4:5], v[84:87]// 000000005908: D3F30054 1D52094C
	ds_read_b128 a[24:27], v2 offset:4736                      // 000000005910: DBFE1280 18000002
	ds_read_b128 a[28:31], v2 offset:4800                      // 000000005918: DBFE12C0 1C000002
	v_mfma_f32_16x16x32_fp8_fp8 v[84:87], a[78:79], a[6:7], v[84:87]// 000000005920: D3F30054 1D520D4E
	v_mfma_f32_16x16x32_fp8_fp8 v[92:95], a[80:81], a[0:1], v[92:95]// 000000005928: D3F3005C 1D720150
	buffer_load_dwordx4 a[40:43], v41, s[24:27], 0 offen       // 000000005930: E05C1000 80862829
	v_mfma_f32_16x16x32_fp8_fp8 v[92:95], a[82:83], a[2:3], v[92:95]// 000000005938: D3F3005C 1D720552
	v_mfma_f32_16x16x32_fp8_fp8 v[92:95], a[84:85], a[4:5], v[92:95]// 000000005940: D3F3005C 1D720954
	v_mfma_f32_16x16x32_fp8_fp8 v[92:95], a[86:87], a[6:7], v[92:95]// 000000005948: D3F3005C 1D720D56
	v_mfma_f32_16x16x32_fp8_fp8 v[100:103], a[88:89], a[0:1], v[100:103]// 000000005950: D3F30064 1D920158
	buffer_load_dwordx4 a[44:47], v41, s[24:27], 0 offen offset:1024// 000000005958: E05C1400 80862C29
	v_mfma_f32_16x16x32_fp8_fp8 v[100:103], a[90:91], a[2:3], v[100:103]// 000000005960: D3F30064 1D92055A
	v_mfma_f32_16x16x32_fp8_fp8 v[100:103], a[92:93], a[4:5], v[100:103]// 000000005968: D3F30064 1D92095C
	v_mfma_f32_16x16x32_fp8_fp8 v[100:103], a[94:95], a[6:7], v[100:103]// 000000005970: D3F30064 1D920D5E
	v_mfma_f32_16x16x32_fp8_fp8 v[80:83], a[64:65], a[8:9], v[80:83]// 000000005978: D3F30050 1D421140
	buffer_load_dwordx4 a[48:51], v42, s[24:27], 0 offen       // 000000005980: E05C1000 8086302A
	v_mfma_f32_16x16x32_fp8_fp8 v[80:83], a[66:67], a[10:11], v[80:83]// 000000005988: D3F30050 1D421542
	v_mfma_f32_16x16x32_fp8_fp8 v[80:83], a[68:69], a[12:13], v[80:83]// 000000005990: D3F30050 1D421944
	v_mfma_f32_16x16x32_fp8_fp8 v[80:83], a[70:71], a[14:15], v[80:83]// 000000005998: D3F30050 1D421D46
	v_mfma_f32_16x16x32_fp8_fp8 v[88:91], a[72:73], a[8:9], v[88:91]// 0000000059A0: D3F30058 1D621148
	buffer_load_dwordx4 a[52:55], v42, s[24:27], 0 offen offset:1024// 0000000059A8: E05C1400 8086342A
	v_mfma_f32_16x16x32_fp8_fp8 v[88:91], a[74:75], a[10:11], v[88:91]// 0000000059B0: D3F30058 1D62154A
	v_mfma_f32_16x16x32_fp8_fp8 v[88:91], a[76:77], a[12:13], v[88:91]// 0000000059B8: D3F30058 1D62194C
	v_mfma_f32_16x16x32_fp8_fp8 v[88:91], a[78:79], a[14:15], v[88:91]// 0000000059C0: D3F30058 1D621D4E
	v_mfma_f32_16x16x32_fp8_fp8 v[96:99], a[80:81], a[8:9], v[96:99]// 0000000059C8: D3F30060 1D821150
	buffer_load_dwordx4 a[56:59], v43, s[24:27], 0 offen       // 0000000059D0: E05C1000 8086382B
	v_mfma_f32_16x16x32_fp8_fp8 v[96:99], a[82:83], a[10:11], v[96:99]// 0000000059D8: D3F30060 1D821552
	v_mfma_f32_16x16x32_fp8_fp8 v[96:99], a[84:85], a[12:13], v[96:99]// 0000000059E0: D3F30060 1D821954
	s_add_u32 s60, 0x180, s80                                  // 0000000059E8: 803C50FF 00000180
	s_cmp_lt_u32 s60, s81                                      // 0000000059F0: BF0A513C
	s_cselect_b32 s57, s57, 0                                  // 0000000059F4: 85398039
	v_mfma_f32_16x16x32_fp8_fp8 v[96:99], a[86:87], a[14:15], v[96:99]// 0000000059F8: D3F30060 1D821D56
	s_add_u32 s60, 0x100, s80                                  // 000000005A00: 803C50FF 00000100
	s_cmp_lt_u32 s60, s81                                      // 000000005A08: BF0A513C
	s_cselect_b32 s58, s58, 0                                  // 000000005A0C: 853A803A
	v_mfma_f32_16x16x32_fp8_fp8 v[104:107], a[88:89], a[8:9], v[104:107]// 000000005A10: D3F30068 1DA21158
	buffer_load_dwordx4 a[60:63], v43, s[24:27], 0 offen offset:1024// 000000005A18: E05C1400 80863C2B
	s_add_u32 s24, s58, s24                                    // 000000005A20: 8018183A
	s_addc_u32 s25, 0, s25                                     // 000000005A24: 82191980
	v_mfma_f32_16x16x32_fp8_fp8 v[104:107], a[90:91], a[10:11], v[104:107]// 000000005A28: D3F30068 1DA2155A
	s_add_u32 s20, s57, s20                                    // 000000005A30: 80141439
	s_addc_u32 s21, 0, s21                                     // 000000005A34: 82151580
	v_mfma_f32_16x16x32_fp8_fp8 v[104:107], a[92:93], a[12:13], v[104:107]// 000000005A38: D3F30068 1DA2195C
	s_add_u32 s84, s83, s84                                    // 000000005A40: 80545453
	s_addc_u32 s85, 0, s85                                     // 000000005A44: 82555580
	v_mfma_f32_16x16x32_fp8_fp8 v[104:107], a[94:95], a[14:15], v[104:107]// 000000005A48: D3F30068 1DA21D5E
	s_addk_i32 s80, 0x80                                       // 000000005A50: B7500080
	s_cmp_lt_i32 s80, s81                                      // 000000005A54: BF045150
	s_cbranch_scc0 label_0CED                                  // 000000005A58: BF8400D3
	s_waitcnt vmcnt(6) lgkmcnt(0)                              // 000000005A5C: BF8C0076
	s_barrier                                                  // 000000005A60: BF8A0000
	v_mfma_f32_16x16x32_fp8_fp8 v[44:47], a[32:33], a[16:17], v[44:47]// 000000005A64: D3F3002C 1CB22120
	buffer_load_dwordx4 a[64:67], v40, s[84:87], 0 offen       // 000000005A6C: E05C1000 80954028
	v_mfma_f32_16x16x32_fp8_fp8 v[44:47], a[34:35], a[18:19], v[44:47]// 000000005A74: D3F3002C 1CB22522
	v_mfma_f32_16x16x32_fp8_fp8 v[44:47], a[36:37], a[20:21], v[44:47]// 000000005A7C: D3F3002C 1CB22924
	v_mfma_f32_16x16x32_fp8_fp8 v[44:47], a[38:39], a[22:23], v[44:47]// 000000005A84: D3F3002C 1CB22D26
	v_mfma_f32_16x16x32_fp8_fp8 v[48:51], a[32:33], a[24:25], v[48:51]// 000000005A8C: D3F30030 1CC23120
	buffer_load_dwordx4 a[68:71], v40, s[84:87], 0 offen offset:1024// 000000005A94: E05C1400 80954428
	v_mfma_f32_16x16x32_fp8_fp8 v[48:51], a[34:35], a[26:27], v[48:51]// 000000005A9C: D3F30030 1CC23522
	v_mfma_f32_16x16x32_fp8_fp8 v[48:51], a[36:37], a[28:29], v[48:51]// 000000005AA4: D3F30030 1CC23924
	v_mfma_f32_16x16x32_fp8_fp8 v[48:51], a[38:39], a[30:31], v[48:51]// 000000005AAC: D3F30030 1CC23D26
	s_waitcnt vmcnt(6)                                         // 000000005AB4: BF8C0F76
	v_mfma_f32_16x16x32_fp8_fp8 v[52:55], a[40:41], a[16:17], v[52:55]// 000000005AB8: D3F30034 1CD22128
	buffer_load_dwordx4 a[72:75], v41, s[84:87], 0 offen       // 000000005AC0: E05C1000 80954829
	v_mfma_f32_16x16x32_fp8_fp8 v[52:55], a[42:43], a[18:19], v[52:55]// 000000005AC8: D3F30034 1CD2252A
	v_mfma_f32_16x16x32_fp8_fp8 v[52:55], a[44:45], a[20:21], v[52:55]// 000000005AD0: D3F30034 1CD2292C
	v_mfma_f32_16x16x32_fp8_fp8 v[52:55], a[46:47], a[22:23], v[52:55]// 000000005AD8: D3F30034 1CD22D2E
	v_mfma_f32_16x16x32_fp8_fp8 v[56:59], a[40:41], a[24:25], v[56:59]// 000000005AE0: D3F30038 1CE23128
	buffer_load_dwordx4 a[76:79], v41, s[84:87], 0 offen offset:1024// 000000005AE8: E05C1400 80954C29
	v_mfma_f32_16x16x32_fp8_fp8 v[56:59], a[42:43], a[26:27], v[56:59]// 000000005AF0: D3F30038 1CE2352A
	v_mfma_f32_16x16x32_fp8_fp8 v[56:59], a[44:45], a[28:29], v[56:59]// 000000005AF8: D3F30038 1CE2392C
	v_mfma_f32_16x16x32_fp8_fp8 v[56:59], a[46:47], a[30:31], v[56:59]// 000000005B00: D3F30038 1CE23D2E
	s_waitcnt vmcnt(6)                                         // 000000005B08: BF8C0F76
	v_mfma_f32_16x16x32_fp8_fp8 v[60:63], a[48:49], a[16:17], v[60:63]// 000000005B0C: D3F3003C 1CF22130
	buffer_load_dwordx4 a[80:83], v42, s[84:87], 0 offen       // 000000005B14: E05C1000 8095502A
	v_mfma_f32_16x16x32_fp8_fp8 v[60:63], a[50:51], a[18:19], v[60:63]// 000000005B1C: D3F3003C 1CF22532
	v_mfma_f32_16x16x32_fp8_fp8 v[60:63], a[52:53], a[20:21], v[60:63]// 000000005B24: D3F3003C 1CF22934
	v_mfma_f32_16x16x32_fp8_fp8 v[60:63], a[54:55], a[22:23], v[60:63]// 000000005B2C: D3F3003C 1CF22D36
	v_mfma_f32_16x16x32_fp8_fp8 v[64:67], a[48:49], a[24:25], v[64:67]// 000000005B34: D3F30040 1D023130
	buffer_load_dwordx4 a[84:87], v42, s[84:87], 0 offen offset:1024// 000000005B3C: E05C1400 8095542A
	v_mfma_f32_16x16x32_fp8_fp8 v[64:67], a[50:51], a[26:27], v[64:67]// 000000005B44: D3F30040 1D023532
	v_mfma_f32_16x16x32_fp8_fp8 v[64:67], a[52:53], a[28:29], v[64:67]// 000000005B4C: D3F30040 1D023934
	v_mfma_f32_16x16x32_fp8_fp8 v[64:67], a[54:55], a[30:31], v[64:67]// 000000005B54: D3F30040 1D023D36
	s_waitcnt vmcnt(6)                                         // 000000005B5C: BF8C0F76
	v_mfma_f32_16x16x32_fp8_fp8 v[68:71], a[56:57], a[16:17], v[68:71]// 000000005B60: D3F30044 1D122138
	buffer_load_dwordx4 a[88:91], v43, s[84:87], 0 offen       // 000000005B68: E05C1000 8095582B
	v_mfma_f32_16x16x32_fp8_fp8 v[68:71], a[58:59], a[18:19], v[68:71]// 000000005B70: D3F30044 1D12253A
	v_mfma_f32_16x16x32_fp8_fp8 v[68:71], a[60:61], a[20:21], v[68:71]// 000000005B78: D3F30044 1D12293C
	v_mfma_f32_16x16x32_fp8_fp8 v[68:71], a[62:63], a[22:23], v[68:71]// 000000005B80: D3F30044 1D122D3E
	v_mfma_f32_16x16x32_fp8_fp8 v[72:75], a[56:57], a[24:25], v[72:75]// 000000005B88: D3F30048 1D223138
	buffer_load_dwordx4 a[92:95], v43, s[84:87], 0 offen offset:1024// 000000005B90: E05C1400 80955C2B
	buffer_load_dword v36, s[20:23], 0 offen lds               // 000000005B98: E0511000 80050024
	s_add_u32 m0, 0x100, s49                                   // 000000005BA0: 807C31FF 00000100
	v_mfma_f32_16x16x32_fp8_fp8 v[72:75], a[58:59], a[26:27], v[72:75]// 000000005BA8: D3F30048 1D22353A
	s_add_u32 s60, 0x80, s80                                   // 000000005BB0: 803C50FF 00000080
	s_cmp_lt_u32 s60, s81                                      // 000000005BB8: BF0A513C
	s_cselect_b32 s83, s83, 0                                  // 000000005BBC: 85538053
	v_mfma_f32_16x16x32_fp8_fp8 v[72:75], a[60:61], a[28:29], v[72:75]// 000000005BC0: D3F30048 1D22393C
	buffer_load_dword v37, s[20:23], 0 offen lds               // 000000005BC8: E0511000 80050025
	s_add_u32 m0, 0x200, s49                                   // 000000005BD0: 807C31FF 00000200
	v_mfma_f32_16x16x32_fp8_fp8 v[72:75], a[62:63], a[30:31], v[72:75]// 000000005BD8: D3F30048 1D223D3E
	buffer_load_dword v38, s[20:23], 0 offen lds               // 000000005BE0: E0511000 80050026
	s_add_u32 m0, 0x300, s49                                   // 000000005BE8: 807C31FF 00000300
	buffer_load_dword v39, s[20:23], 0 offen lds               // 000000005BF0: E0511000 80050027
	s_add_u32 m0, 0, s48                                       // 000000005BF8: 807C3080
	s_waitcnt vmcnt(4)                                         // 000000005BFC: BF8C0F74
	v_mfma_f32_16x16x32_fp8_fp8 v[76:79], a[64:65], a[16:17], v[76:79]// 000000005C00: D3F3004C 1D322140
	buffer_load_dwordx4 a[32:35], v40, s[24:27], 0 offen       // 000000005C08: E05C1000 80862028
	v_mfma_f32_16x16x32_fp8_fp8 v[76:79], a[66:67], a[18:19], v[76:79]// 000000005C10: D3F3004C 1D322542
	v_mfma_f32_16x16x32_fp8_fp8 v[76:79], a[68:69], a[20:21], v[76:79]// 000000005C18: D3F3004C 1D322944
	ds_read_b128 a[0:3], v2                                    // 000000005C20: DBFE0000 00000002
	ds_read_b128 a[4:7], v2 offset:64                          // 000000005C28: DBFE0040 04000002
	v_mfma_f32_16x16x32_fp8_fp8 v[76:79], a[70:71], a[22:23], v[76:79]// 000000005C30: D3F3004C 1D322D46
	v_mfma_f32_16x16x32_fp8_fp8 v[84:87], a[72:73], a[16:17], v[84:87]// 000000005C38: D3F30054 1D522148
	buffer_load_dwordx4 a[36:39], v40, s[24:27], 0 offen offset:1024// 000000005C40: E05C1400 80862428
	v_mfma_f32_16x16x32_fp8_fp8 v[84:87], a[74:75], a[18:19], v[84:87]// 000000005C48: D3F30054 1D52254A
	v_mfma_f32_16x16x32_fp8_fp8 v[84:87], a[76:77], a[20:21], v[84:87]// 000000005C50: D3F30054 1D52294C
	ds_read_b128 a[8:11], v2 offset:512                        // 000000005C58: DBFE0200 08000002
	ds_read_b128 a[12:15], v2 offset:576                       // 000000005C60: DBFE0240 0C000002
	v_mfma_f32_16x16x32_fp8_fp8 v[84:87], a[78:79], a[22:23], v[84:87]// 000000005C68: D3F30054 1D522D4E
	v_mfma_f32_16x16x32_fp8_fp8 v[92:95], a[80:81], a[16:17], v[92:95]// 000000005C70: D3F3005C 1D722150
	buffer_load_dwordx4 a[40:43], v41, s[24:27], 0 offen       // 000000005C78: E05C1000 80862829
	v_mfma_f32_16x16x32_fp8_fp8 v[92:95], a[82:83], a[18:19], v[92:95]// 000000005C80: D3F3005C 1D722552
	v_mfma_f32_16x16x32_fp8_fp8 v[92:95], a[84:85], a[20:21], v[92:95]// 000000005C88: D3F3005C 1D722954
	v_mfma_f32_16x16x32_fp8_fp8 v[92:95], a[86:87], a[22:23], v[92:95]// 000000005C90: D3F3005C 1D722D56
	v_mfma_f32_16x16x32_fp8_fp8 v[100:103], a[88:89], a[16:17], v[100:103]// 000000005C98: D3F30064 1D922158
	buffer_load_dwordx4 a[44:47], v41, s[24:27], 0 offen offset:1024// 000000005CA0: E05C1400 80862C29
	v_mfma_f32_16x16x32_fp8_fp8 v[100:103], a[90:91], a[18:19], v[100:103]// 000000005CA8: D3F30064 1D92255A
	v_mfma_f32_16x16x32_fp8_fp8 v[100:103], a[92:93], a[20:21], v[100:103]// 000000005CB0: D3F30064 1D92295C
	v_mfma_f32_16x16x32_fp8_fp8 v[100:103], a[94:95], a[22:23], v[100:103]// 000000005CB8: D3F30064 1D922D5E
	v_mfma_f32_16x16x32_fp8_fp8 v[80:83], a[64:65], a[24:25], v[80:83]// 000000005CC0: D3F30050 1D423140
	buffer_load_dwordx4 a[48:51], v42, s[24:27], 0 offen       // 000000005CC8: E05C1000 8086302A
	v_mfma_f32_16x16x32_fp8_fp8 v[80:83], a[66:67], a[26:27], v[80:83]// 000000005CD0: D3F30050 1D423542
	v_mfma_f32_16x16x32_fp8_fp8 v[80:83], a[68:69], a[28:29], v[80:83]// 000000005CD8: D3F30050 1D423944
	v_mfma_f32_16x16x32_fp8_fp8 v[80:83], a[70:71], a[30:31], v[80:83]// 000000005CE0: D3F30050 1D423D46
	v_mfma_f32_16x16x32_fp8_fp8 v[88:91], a[72:73], a[24:25], v[88:91]// 000000005CE8: D3F30058 1D623148
	buffer_load_dwordx4 a[52:55], v42, s[24:27], 0 offen offset:1024// 000000005CF0: E05C1400 8086342A
	v_mfma_f32_16x16x32_fp8_fp8 v[88:91], a[74:75], a[26:27], v[88:91]// 000000005CF8: D3F30058 1D62354A
	v_mfma_f32_16x16x32_fp8_fp8 v[88:91], a[76:77], a[28:29], v[88:91]// 000000005D00: D3F30058 1D62394C
	v_mfma_f32_16x16x32_fp8_fp8 v[88:91], a[78:79], a[30:31], v[88:91]// 000000005D08: D3F30058 1D623D4E
	v_mfma_f32_16x16x32_fp8_fp8 v[96:99], a[80:81], a[24:25], v[96:99]// 000000005D10: D3F30060 1D823150
	buffer_load_dwordx4 a[56:59], v43, s[24:27], 0 offen       // 000000005D18: E05C1000 8086382B
	v_mfma_f32_16x16x32_fp8_fp8 v[96:99], a[82:83], a[26:27], v[96:99]// 000000005D20: D3F30060 1D823552
	v_mfma_f32_16x16x32_fp8_fp8 v[96:99], a[84:85], a[28:29], v[96:99]// 000000005D28: D3F30060 1D823954
	s_add_u32 s60, 0x180, s80                                  // 000000005D30: 803C50FF 00000180
	s_cmp_lt_u32 s60, s81                                      // 000000005D38: BF0A513C
	s_cselect_b32 s57, s57, 0                                  // 000000005D3C: 85398039
	v_mfma_f32_16x16x32_fp8_fp8 v[96:99], a[86:87], a[30:31], v[96:99]// 000000005D40: D3F30060 1D823D56
	s_add_u32 s60, 0x100, s80                                  // 000000005D48: 803C50FF 00000100
	s_cmp_lt_u32 s60, s81                                      // 000000005D50: BF0A513C
	s_cselect_b32 s58, s58, 0                                  // 000000005D54: 853A803A
	v_mfma_f32_16x16x32_fp8_fp8 v[104:107], a[88:89], a[24:25], v[104:107]// 000000005D58: D3F30068 1DA23158
	buffer_load_dwordx4 a[60:63], v43, s[24:27], 0 offen offset:1024// 000000005D60: E05C1400 80863C2B
	s_add_u32 s24, s58, s24                                    // 000000005D68: 8018183A
	s_addc_u32 s25, 0, s25                                     // 000000005D6C: 82191980
	v_mfma_f32_16x16x32_fp8_fp8 v[104:107], a[90:91], a[26:27], v[104:107]// 000000005D70: D3F30068 1DA2355A
	s_add_u32 s20, s57, s20                                    // 000000005D78: 80141439
	s_addc_u32 s21, 0, s21                                     // 000000005D7C: 82151580
	v_mfma_f32_16x16x32_fp8_fp8 v[104:107], a[92:93], a[28:29], v[104:107]// 000000005D80: D3F30068 1DA2395C
	s_add_u32 s84, s83, s84                                    // 000000005D88: 80545453
	s_addc_u32 s85, 0, s85                                     // 000000005D8C: 82555580
	v_mfma_f32_16x16x32_fp8_fp8 v[104:107], a[94:95], a[30:31], v[104:107]// 000000005D90: D3F30068 1DA23D5E
	s_addk_i32 s80, 0x80                                       // 000000005D98: B7500080
	s_cmp_lt_i32 s80, s81                                      // 000000005D9C: BF045150
	s_cbranch_scc0 label_0CED                                  // 000000005DA0: BF840001
	s_branch label_0B48                                        // 000000005DA4: BF82FE5B

0000000000005da8 <label_0CED>:
	v_mul_f32_dpp v44, v24, v44 row_newbcast:0 row_mask:0xf bank_mask:0xf// 000000005DA8: 0A5858FA FF015018
	v_mul_f32_dpp v45, v24, v45 row_newbcast:1 row_mask:0xf bank_mask:0xf// 000000005DB0: 0A5A5AFA FF015118
	v_mul_f32_dpp v46, v24, v46 row_newbcast:2 row_mask:0xf bank_mask:0xf// 000000005DB8: 0A5C5CFA FF015218
	v_mul_f32_dpp v47, v24, v47 row_newbcast:3 row_mask:0xf bank_mask:0xf// 000000005DC0: 0A5E5EFA FF015318
	v_mul_f32_dpp v48, v24, v48 row_newbcast:0 row_mask:0xf bank_mask:0xf// 000000005DC8: 0A6060FA FF015018
	v_mul_f32_dpp v49, v24, v49 row_newbcast:1 row_mask:0xf bank_mask:0xf// 000000005DD0: 0A6262FA FF015118
	v_mul_f32_dpp v50, v24, v50 row_newbcast:2 row_mask:0xf bank_mask:0xf// 000000005DD8: 0A6464FA FF015218
	v_mul_f32_dpp v51, v24, v51 row_newbcast:3 row_mask:0xf bank_mask:0xf// 000000005DE0: 0A6666FA FF015318
	v_mul_f32_dpp v52, v24, v52 row_newbcast:4 row_mask:0xf bank_mask:0xf// 000000005DE8: 0A6868FA FF015418
	v_mul_f32_dpp v53, v24, v53 row_newbcast:5 row_mask:0xf bank_mask:0xf// 000000005DF0: 0A6A6AFA FF015518
	v_mul_f32_dpp v54, v24, v54 row_newbcast:6 row_mask:0xf bank_mask:0xf// 000000005DF8: 0A6C6CFA FF015618
	v_mul_f32_dpp v55, v24, v55 row_newbcast:7 row_mask:0xf bank_mask:0xf// 000000005E00: 0A6E6EFA FF015718
	v_mul_f32_dpp v56, v24, v56 row_newbcast:4 row_mask:0xf bank_mask:0xf// 000000005E08: 0A7070FA FF015418
	v_mul_f32_dpp v57, v24, v57 row_newbcast:5 row_mask:0xf bank_mask:0xf// 000000005E10: 0A7272FA FF015518
	v_mul_f32_dpp v58, v24, v58 row_newbcast:6 row_mask:0xf bank_mask:0xf// 000000005E18: 0A7474FA FF015618
	v_mul_f32_dpp v59, v24, v59 row_newbcast:7 row_mask:0xf bank_mask:0xf// 000000005E20: 0A7676FA FF015718
	v_mul_f32_dpp v60, v24, v60 row_newbcast:8 row_mask:0xf bank_mask:0xf// 000000005E28: 0A7878FA FF015818
	v_mul_f32_dpp v61, v24, v61 row_newbcast:9 row_mask:0xf bank_mask:0xf// 000000005E30: 0A7A7AFA FF015918
	v_mul_f32_dpp v62, v24, v62 row_newbcast:10 row_mask:0xf bank_mask:0xf// 000000005E38: 0A7C7CFA FF015A18
	v_mul_f32_dpp v63, v24, v63 row_newbcast:11 row_mask:0xf bank_mask:0xf// 000000005E40: 0A7E7EFA FF015B18
	v_mul_f32_dpp v64, v24, v64 row_newbcast:8 row_mask:0xf bank_mask:0xf// 000000005E48: 0A8080FA FF015818
	v_mul_f32_dpp v65, v24, v65 row_newbcast:9 row_mask:0xf bank_mask:0xf// 000000005E50: 0A8282FA FF015918
	v_mul_f32_dpp v66, v24, v66 row_newbcast:10 row_mask:0xf bank_mask:0xf// 000000005E58: 0A8484FA FF015A18
	v_mul_f32_dpp v67, v24, v67 row_newbcast:11 row_mask:0xf bank_mask:0xf// 000000005E60: 0A8686FA FF015B18
	v_mul_f32_dpp v68, v24, v68 row_newbcast:12 row_mask:0xf bank_mask:0xf// 000000005E68: 0A8888FA FF015C18
	v_mul_f32_dpp v69, v24, v69 row_newbcast:13 row_mask:0xf bank_mask:0xf// 000000005E70: 0A8A8AFA FF015D18
	v_mul_f32_dpp v70, v24, v70 row_newbcast:14 row_mask:0xf bank_mask:0xf// 000000005E78: 0A8C8CFA FF015E18
	v_mul_f32_dpp v71, v24, v71 row_newbcast:15 row_mask:0xf bank_mask:0xf// 000000005E80: 0A8E8EFA FF015F18
	v_mul_f32_dpp v72, v24, v72 row_newbcast:12 row_mask:0xf bank_mask:0xf// 000000005E88: 0A9090FA FF015C18
	v_mul_f32_dpp v73, v24, v73 row_newbcast:13 row_mask:0xf bank_mask:0xf// 000000005E90: 0A9292FA FF015D18
	v_mul_f32_dpp v74, v24, v74 row_newbcast:14 row_mask:0xf bank_mask:0xf// 000000005E98: 0A9494FA FF015E18
	v_mul_f32_dpp v75, v24, v75 row_newbcast:15 row_mask:0xf bank_mask:0xf// 000000005EA0: 0A9696FA FF015F18
	v_mul_f32_dpp v76, v26, v76 row_newbcast:0 row_mask:0xf bank_mask:0xf// 000000005EA8: 0A9898FA FF01501A
	v_mul_f32_dpp v77, v26, v77 row_newbcast:1 row_mask:0xf bank_mask:0xf// 000000005EB0: 0A9A9AFA FF01511A
	v_mul_f32_dpp v78, v26, v78 row_newbcast:2 row_mask:0xf bank_mask:0xf// 000000005EB8: 0A9C9CFA FF01521A
	v_mul_f32_dpp v79, v26, v79 row_newbcast:3 row_mask:0xf bank_mask:0xf// 000000005EC0: 0A9E9EFA FF01531A
	v_mul_f32_dpp v80, v26, v80 row_newbcast:0 row_mask:0xf bank_mask:0xf// 000000005EC8: 0AA0A0FA FF01501A
	v_mul_f32_dpp v81, v26, v81 row_newbcast:1 row_mask:0xf bank_mask:0xf// 000000005ED0: 0AA2A2FA FF01511A
	v_mul_f32_dpp v82, v26, v82 row_newbcast:2 row_mask:0xf bank_mask:0xf// 000000005ED8: 0AA4A4FA FF01521A
	v_mul_f32_dpp v83, v26, v83 row_newbcast:3 row_mask:0xf bank_mask:0xf// 000000005EE0: 0AA6A6FA FF01531A
	v_mul_f32_dpp v84, v26, v84 row_newbcast:4 row_mask:0xf bank_mask:0xf// 000000005EE8: 0AA8A8FA FF01541A
	v_mul_f32_dpp v85, v26, v85 row_newbcast:5 row_mask:0xf bank_mask:0xf// 000000005EF0: 0AAAAAFA FF01551A
	v_mul_f32_dpp v86, v26, v86 row_newbcast:6 row_mask:0xf bank_mask:0xf// 000000005EF8: 0AACACFA FF01561A
	v_mul_f32_dpp v87, v26, v87 row_newbcast:7 row_mask:0xf bank_mask:0xf// 000000005F00: 0AAEAEFA FF01571A
	v_mul_f32_dpp v88, v26, v88 row_newbcast:4 row_mask:0xf bank_mask:0xf// 000000005F08: 0AB0B0FA FF01541A
	v_mul_f32_dpp v89, v26, v89 row_newbcast:5 row_mask:0xf bank_mask:0xf// 000000005F10: 0AB2B2FA FF01551A
	v_mul_f32_dpp v90, v26, v90 row_newbcast:6 row_mask:0xf bank_mask:0xf// 000000005F18: 0AB4B4FA FF01561A
	v_mul_f32_dpp v91, v26, v91 row_newbcast:7 row_mask:0xf bank_mask:0xf// 000000005F20: 0AB6B6FA FF01571A
	v_mul_f32_dpp v92, v26, v92 row_newbcast:8 row_mask:0xf bank_mask:0xf// 000000005F28: 0AB8B8FA FF01581A
	v_mul_f32_dpp v93, v26, v93 row_newbcast:9 row_mask:0xf bank_mask:0xf// 000000005F30: 0ABABAFA FF01591A
	v_mul_f32_dpp v94, v26, v94 row_newbcast:10 row_mask:0xf bank_mask:0xf// 000000005F38: 0ABCBCFA FF015A1A
	v_mul_f32_dpp v95, v26, v95 row_newbcast:11 row_mask:0xf bank_mask:0xf// 000000005F40: 0ABEBEFA FF015B1A
	v_mul_f32_dpp v96, v26, v96 row_newbcast:8 row_mask:0xf bank_mask:0xf// 000000005F48: 0AC0C0FA FF01581A
	v_mul_f32_dpp v97, v26, v97 row_newbcast:9 row_mask:0xf bank_mask:0xf// 000000005F50: 0AC2C2FA FF01591A
	v_mul_f32_dpp v98, v26, v98 row_newbcast:10 row_mask:0xf bank_mask:0xf// 000000005F58: 0AC4C4FA FF015A1A
	v_mul_f32_dpp v99, v26, v99 row_newbcast:11 row_mask:0xf bank_mask:0xf// 000000005F60: 0AC6C6FA FF015B1A
	v_mul_f32_dpp v100, v26, v100 row_newbcast:12 row_mask:0xf bank_mask:0xf// 000000005F68: 0AC8C8FA FF015C1A
	v_mul_f32_dpp v101, v26, v101 row_newbcast:13 row_mask:0xf bank_mask:0xf// 000000005F70: 0ACACAFA FF015D1A
	v_mul_f32_dpp v102, v26, v102 row_newbcast:14 row_mask:0xf bank_mask:0xf// 000000005F78: 0ACCCCFA FF015E1A
	v_mul_f32_dpp v103, v26, v103 row_newbcast:15 row_mask:0xf bank_mask:0xf// 000000005F80: 0ACECEFA FF015F1A
	v_mul_f32_dpp v104, v26, v104 row_newbcast:12 row_mask:0xf bank_mask:0xf// 000000005F88: 0AD0D0FA FF015C1A
	v_mul_f32_dpp v105, v26, v105 row_newbcast:13 row_mask:0xf bank_mask:0xf// 000000005F90: 0AD2D2FA FF015D1A
	v_mul_f32_dpp v106, v26, v106 row_newbcast:14 row_mask:0xf bank_mask:0xf// 000000005F98: 0AD4D4FA FF015E1A
	v_mul_f32_dpp v107, v26, v107 row_newbcast:15 row_mask:0xf bank_mask:0xf// 000000005FA0: 0AD6D6FA FF015F1A
	v_mov_b32_e32 v4, v30                                      // 000000005FA8: 7E08031E
	v_mov_b32_e32 v5, v4                                       // 000000005FAC: 7E0A0304
	v_pk_mul_f32 v[44:45], v[4:5], v[44:45]                    // 000000005FB0: D3B1402C 18025904
	v_pk_mul_f32 v[76:77], v[4:5], v[76:77]                    // 000000005FB8: D3B1404C 18029904
	v_pk_mul_f32 v[46:47], v[4:5], v[46:47]                    // 000000005FC0: D3B1402E 18025D04
	v_pk_mul_f32 v[78:79], v[4:5], v[78:79]                    // 000000005FC8: D3B1404E 18029D04
	v_pk_mul_f32 v[52:53], v[4:5], v[52:53]                    // 000000005FD0: D3B14034 18026904
	v_pk_mul_f32 v[84:85], v[4:5], v[84:85]                    // 000000005FD8: D3B14054 1802A904
	v_pk_mul_f32 v[54:55], v[4:5], v[54:55]                    // 000000005FE0: D3B14036 18026D04
	v_pk_mul_f32 v[86:87], v[4:5], v[86:87]                    // 000000005FE8: D3B14056 1802AD04
	v_pk_mul_f32 v[60:61], v[4:5], v[60:61]                    // 000000005FF0: D3B1403C 18027904
	v_pk_mul_f32 v[92:93], v[4:5], v[92:93]                    // 000000005FF8: D3B1405C 1802B904
	v_pk_mul_f32 v[62:63], v[4:5], v[62:63]                    // 000000006000: D3B1403E 18027D04
	v_pk_mul_f32 v[94:95], v[4:5], v[94:95]                    // 000000006008: D3B1405E 1802BD04
	v_pk_mul_f32 v[68:69], v[4:5], v[68:69]                    // 000000006010: D3B14044 18028904
	v_pk_mul_f32 v[100:101], v[4:5], v[100:101]                // 000000006018: D3B14064 1802C904
	v_pk_mul_f32 v[70:71], v[4:5], v[70:71]                    // 000000006020: D3B14046 18028D04
	v_pk_mul_f32 v[102:103], v[4:5], v[102:103]                // 000000006028: D3B14066 1802CD04
	v_mov_b32_e32 v4, v31                                      // 000000006030: 7E08031F
	v_mov_b32_e32 v5, v4                                       // 000000006034: 7E0A0304
	v_pk_mul_f32 v[48:49], v[4:5], v[48:49]                    // 000000006038: D3B14030 18026104
	v_pk_mul_f32 v[80:81], v[4:5], v[80:81]                    // 000000006040: D3B14050 1802A104
	v_pk_mul_f32 v[50:51], v[4:5], v[50:51]                    // 000000006048: D3B14032 18026504
	v_pk_mul_f32 v[82:83], v[4:5], v[82:83]                    // 000000006050: D3B14052 1802A504
	v_pk_mul_f32 v[56:57], v[4:5], v[56:57]                    // 000000006058: D3B14038 18027104
	v_pk_mul_f32 v[88:89], v[4:5], v[88:89]                    // 000000006060: D3B14058 1802B104
	v_pk_mul_f32 v[58:59], v[4:5], v[58:59]                    // 000000006068: D3B1403A 18027504
	v_pk_mul_f32 v[90:91], v[4:5], v[90:91]                    // 000000006070: D3B1405A 1802B504
	v_pk_mul_f32 v[64:65], v[4:5], v[64:65]                    // 000000006078: D3B14040 18028104
	v_pk_mul_f32 v[96:97], v[4:5], v[96:97]                    // 000000006080: D3B14060 1802C104
	v_pk_mul_f32 v[66:67], v[4:5], v[66:67]                    // 000000006088: D3B14042 18028504
	v_pk_mul_f32 v[98:99], v[4:5], v[98:99]                    // 000000006090: D3B14062 1802C504
	v_pk_mul_f32 v[72:73], v[4:5], v[72:73]                    // 000000006098: D3B14048 18029104
	v_pk_mul_f32 v[104:105], v[4:5], v[104:105]                // 0000000060A0: D3B14068 1802D104
	v_pk_mul_f32 v[74:75], v[4:5], v[74:75]                    // 0000000060A8: D3B1404A 18029504
	v_pk_mul_f32 v[106:107], v[4:5], v[106:107]                // 0000000060B0: D3B1406A 1802D504
	s_cmp_eq_u32 s88, 0                                        // 0000000060B8: BF068058
	s_cbranch_scc0 label_11DC                                  // 0000000060BC: BF840429
	s_cmp_eq_u32 s89, 0                                        // 0000000060C0: BF068059
	s_cbranch_scc1 label_0EFA                                  // 0000000060C4: BF850145
	v_mov_b32_e32 v8, v1                                       // 0000000060C8: 7E100301
	v_mov_b32_e32 v9, v1                                       // 0000000060CC: 7E120301
	s_mov_b32 s60, s6                                          // 0000000060D0: BEBC0006
	s_mov_b32 s61, s6                                          // 0000000060D4: BEBD0006
	v_pk_mul_f32 v[4:5], v[44:45], v[44:45]                    // 0000000060D8: D3B14004 1802592C
	v_pk_mul_f32 v[6:7], v[46:47], v[46:47]                    // 0000000060E0: D3B14006 18025D2E
	v_pk_fma_f32 v[4:5], v[4:5], s[78:79], v[8:9]              // 0000000060E8: D3B04004 1C209D04
	v_pk_fma_f32 v[6:7], v[6:7], s[78:79], v[8:9]              // 0000000060F0: D3B04006 1C209D06
	v_pk_mul_f32 v[4:5], v[4:5], v[44:45]                      // 0000000060F8: D3B14004 18025904
	v_pk_mul_f32 v[6:7], v[6:7], v[46:47]                      // 000000006100: D3B14006 18025D06
	v_pk_mul_f32 v[4:5], v[4:5], s[60:61]                      // 000000006108: D3B14004 18007904
	v_pk_mul_f32 v[6:7], v[6:7], s[60:61]                      // 000000006110: D3B14006 18007906
	v_exp_f32_e32 v4, v4                                       // 000000006118: 7E084104
	v_exp_f32_e32 v5, v5                                       // 00000000611C: 7E0A4105
	v_exp_f32_e32 v6, v6                                       // 000000006120: 7E0C4106
	v_exp_f32_e32 v7, v7                                       // 000000006124: 7E0E4107
	v_add_f32_e64 v4, v4, 1.0                                  // 000000006128: D1010004 0001E504
	v_add_f32_e64 v5, v5, 1.0                                  // 000000006130: D1010005 0001E505
	v_add_f32_e64 v6, v6, 1.0                                  // 000000006138: D1010006 0001E506
	v_add_f32_e64 v7, v7, 1.0                                  // 000000006140: D1010007 0001E507
	v_rcp_f32_e32 v4, v4                                       // 000000006148: 7E084504
	v_rcp_f32_e32 v5, v5                                       // 00000000614C: 7E0A4505
	v_rcp_f32_e32 v6, v6                                       // 000000006150: 7E0C4506
	v_rcp_f32_e32 v7, v7                                       // 000000006154: 7E0E4507
	v_mul_f32_e32 v44, v44, v4                                 // 000000006158: 0A58092C
	v_mul_f32_e32 v45, v45, v5                                 // 00000000615C: 0A5A0B2D
	v_mul_f32_e32 v46, v46, v6                                 // 000000006160: 0A5C0D2E
	v_mul_f32_e32 v47, v47, v7                                 // 000000006164: 0A5E0F2F
	v_mul_f32_e32 v44, v44, v76                                // 000000006168: 0A58992C
	v_mul_f32_e32 v45, v45, v77                                // 00000000616C: 0A5A9B2D
	v_mul_f32_e32 v46, v46, v78                                // 000000006170: 0A5C9D2E
	v_mul_f32_e32 v47, v47, v79                                // 000000006174: 0A5E9F2F
	v_pk_mul_f32 v[4:5], v[48:49], v[48:49]                    // 000000006178: D3B14004 18026130
	v_pk_mul_f32 v[6:7], v[50:51], v[50:51]                    // 000000006180: D3B14006 18026532
	v_pk_fma_f32 v[4:5], v[4:5], s[78:79], v[8:9]              // 000000006188: D3B04004 1C209D04
	v_pk_fma_f32 v[6:7], v[6:7], s[78:79], v[8:9]              // 000000006190: D3B04006 1C209D06
	v_pk_mul_f32 v[4:5], v[4:5], v[48:49]                      // 000000006198: D3B14004 18026104
	v_pk_mul_f32 v[6:7], v[6:7], v[50:51]                      // 0000000061A0: D3B14006 18026506
	v_pk_mul_f32 v[4:5], v[4:5], s[60:61]                      // 0000000061A8: D3B14004 18007904
	v_pk_mul_f32 v[6:7], v[6:7], s[60:61]                      // 0000000061B0: D3B14006 18007906
	v_exp_f32_e32 v4, v4                                       // 0000000061B8: 7E084104
	v_exp_f32_e32 v5, v5                                       // 0000000061BC: 7E0A4105
	v_exp_f32_e32 v6, v6                                       // 0000000061C0: 7E0C4106
	v_exp_f32_e32 v7, v7                                       // 0000000061C4: 7E0E4107
	v_add_f32_e64 v4, v4, 1.0                                  // 0000000061C8: D1010004 0001E504
	v_add_f32_e64 v5, v5, 1.0                                  // 0000000061D0: D1010005 0001E505
	v_add_f32_e64 v6, v6, 1.0                                  // 0000000061D8: D1010006 0001E506
	v_add_f32_e64 v7, v7, 1.0                                  // 0000000061E0: D1010007 0001E507
	v_rcp_f32_e32 v4, v4                                       // 0000000061E8: 7E084504
	v_rcp_f32_e32 v5, v5                                       // 0000000061EC: 7E0A4505
	v_rcp_f32_e32 v6, v6                                       // 0000000061F0: 7E0C4506
	v_rcp_f32_e32 v7, v7                                       // 0000000061F4: 7E0E4507
	v_mul_f32_e32 v48, v48, v4                                 // 0000000061F8: 0A600930
	v_mul_f32_e32 v49, v49, v5                                 // 0000000061FC: 0A620B31
	v_mul_f32_e32 v50, v50, v6                                 // 000000006200: 0A640D32
	v_mul_f32_e32 v51, v51, v7                                 // 000000006204: 0A660F33
	v_mul_f32_e32 v48, v48, v80                                // 000000006208: 0A60A130
	v_mul_f32_e32 v49, v49, v81                                // 00000000620C: 0A62A331
	v_mul_f32_e32 v50, v50, v82                                // 000000006210: 0A64A532
	v_mul_f32_e32 v51, v51, v83                                // 000000006214: 0A66A733
	v_pk_mul_f32 v[4:5], v[52:53], v[52:53]                    // 000000006218: D3B14004 18026934
	v_pk_mul_f32 v[6:7], v[54:55], v[54:55]                    // 000000006220: D3B14006 18026D36
	v_pk_fma_f32 v[4:5], v[4:5], s[78:79], v[8:9]              // 000000006228: D3B04004 1C209D04
	v_pk_fma_f32 v[6:7], v[6:7], s[78:79], v[8:9]              // 000000006230: D3B04006 1C209D06
	v_pk_mul_f32 v[4:5], v[4:5], v[52:53]                      // 000000006238: D3B14004 18026904
	v_pk_mul_f32 v[6:7], v[6:7], v[54:55]                      // 000000006240: D3B14006 18026D06
	v_pk_mul_f32 v[4:5], v[4:5], s[60:61]                      // 000000006248: D3B14004 18007904
	v_pk_mul_f32 v[6:7], v[6:7], s[60:61]                      // 000000006250: D3B14006 18007906
	v_exp_f32_e32 v4, v4                                       // 000000006258: 7E084104
	v_exp_f32_e32 v5, v5                                       // 00000000625C: 7E0A4105
	v_exp_f32_e32 v6, v6                                       // 000000006260: 7E0C4106
	v_exp_f32_e32 v7, v7                                       // 000000006264: 7E0E4107
	v_add_f32_e64 v4, v4, 1.0                                  // 000000006268: D1010004 0001E504
	v_add_f32_e64 v5, v5, 1.0                                  // 000000006270: D1010005 0001E505
	v_add_f32_e64 v6, v6, 1.0                                  // 000000006278: D1010006 0001E506
	v_add_f32_e64 v7, v7, 1.0                                  // 000000006280: D1010007 0001E507
	v_rcp_f32_e32 v4, v4                                       // 000000006288: 7E084504
	v_rcp_f32_e32 v5, v5                                       // 00000000628C: 7E0A4505
	v_rcp_f32_e32 v6, v6                                       // 000000006290: 7E0C4506
	v_rcp_f32_e32 v7, v7                                       // 000000006294: 7E0E4507
	v_mul_f32_e32 v52, v52, v4                                 // 000000006298: 0A680934
	v_mul_f32_e32 v53, v53, v5                                 // 00000000629C: 0A6A0B35
	v_mul_f32_e32 v54, v54, v6                                 // 0000000062A0: 0A6C0D36
	v_mul_f32_e32 v55, v55, v7                                 // 0000000062A4: 0A6E0F37
	v_mul_f32_e32 v52, v52, v84                                // 0000000062A8: 0A68A934
	v_mul_f32_e32 v53, v53, v85                                // 0000000062AC: 0A6AAB35
	v_mul_f32_e32 v54, v54, v86                                // 0000000062B0: 0A6CAD36
	v_mul_f32_e32 v55, v55, v87                                // 0000000062B4: 0A6EAF37
	v_pk_mul_f32 v[4:5], v[56:57], v[56:57]                    // 0000000062B8: D3B14004 18027138
	v_pk_mul_f32 v[6:7], v[58:59], v[58:59]                    // 0000000062C0: D3B14006 1802753A
	v_pk_fma_f32 v[4:5], v[4:5], s[78:79], v[8:9]              // 0000000062C8: D3B04004 1C209D04
	v_pk_fma_f32 v[6:7], v[6:7], s[78:79], v[8:9]              // 0000000062D0: D3B04006 1C209D06
	v_pk_mul_f32 v[4:5], v[4:5], v[56:57]                      // 0000000062D8: D3B14004 18027104
	v_pk_mul_f32 v[6:7], v[6:7], v[58:59]                      // 0000000062E0: D3B14006 18027506
	v_pk_mul_f32 v[4:5], v[4:5], s[60:61]                      // 0000000062E8: D3B14004 18007904
	v_pk_mul_f32 v[6:7], v[6:7], s[60:61]                      // 0000000062F0: D3B14006 18007906
	v_exp_f32_e32 v4, v4                                       // 0000000062F8: 7E084104
	v_exp_f32_e32 v5, v5                                       // 0000000062FC: 7E0A4105
	v_exp_f32_e32 v6, v6                                       // 000000006300: 7E0C4106
	v_exp_f32_e32 v7, v7                                       // 000000006304: 7E0E4107
	v_add_f32_e64 v4, v4, 1.0                                  // 000000006308: D1010004 0001E504
	v_add_f32_e64 v5, v5, 1.0                                  // 000000006310: D1010005 0001E505
	v_add_f32_e64 v6, v6, 1.0                                  // 000000006318: D1010006 0001E506
	v_add_f32_e64 v7, v7, 1.0                                  // 000000006320: D1010007 0001E507
	v_rcp_f32_e32 v4, v4                                       // 000000006328: 7E084504
	v_rcp_f32_e32 v5, v5                                       // 00000000632C: 7E0A4505
	v_rcp_f32_e32 v6, v6                                       // 000000006330: 7E0C4506
	v_rcp_f32_e32 v7, v7                                       // 000000006334: 7E0E4507
	v_mul_f32_e32 v56, v56, v4                                 // 000000006338: 0A700938
	v_mul_f32_e32 v57, v57, v5                                 // 00000000633C: 0A720B39
	v_mul_f32_e32 v58, v58, v6                                 // 000000006340: 0A740D3A
	v_mul_f32_e32 v59, v59, v7                                 // 000000006344: 0A760F3B
	v_mul_f32_e32 v56, v56, v88                                // 000000006348: 0A70B138
	v_mul_f32_e32 v57, v57, v89                                // 00000000634C: 0A72B339
	v_mul_f32_e32 v58, v58, v90                                // 000000006350: 0A74B53A
	v_mul_f32_e32 v59, v59, v91                                // 000000006354: 0A76B73B
	v_pk_mul_f32 v[4:5], v[60:61], v[60:61]                    // 000000006358: D3B14004 1802793C
	v_pk_mul_f32 v[6:7], v[62:63], v[62:63]                    // 000000006360: D3B14006 18027D3E
	v_pk_fma_f32 v[4:5], v[4:5], s[78:79], v[8:9]              // 000000006368: D3B04004 1C209D04
	v_pk_fma_f32 v[6:7], v[6:7], s[78:79], v[8:9]              // 000000006370: D3B04006 1C209D06
	v_pk_mul_f32 v[4:5], v[4:5], v[60:61]                      // 000000006378: D3B14004 18027904
	v_pk_mul_f32 v[6:7], v[6:7], v[62:63]                      // 000000006380: D3B14006 18027D06
	v_pk_mul_f32 v[4:5], v[4:5], s[60:61]                      // 000000006388: D3B14004 18007904
	v_pk_mul_f32 v[6:7], v[6:7], s[60:61]                      // 000000006390: D3B14006 18007906
	v_exp_f32_e32 v4, v4                                       // 000000006398: 7E084104
	v_exp_f32_e32 v5, v5                                       // 00000000639C: 7E0A4105
	v_exp_f32_e32 v6, v6                                       // 0000000063A0: 7E0C4106
	v_exp_f32_e32 v7, v7                                       // 0000000063A4: 7E0E4107
	v_add_f32_e64 v4, v4, 1.0                                  // 0000000063A8: D1010004 0001E504
	v_add_f32_e64 v5, v5, 1.0                                  // 0000000063B0: D1010005 0001E505
	v_add_f32_e64 v6, v6, 1.0                                  // 0000000063B8: D1010006 0001E506
	v_add_f32_e64 v7, v7, 1.0                                  // 0000000063C0: D1010007 0001E507
	v_rcp_f32_e32 v4, v4                                       // 0000000063C8: 7E084504
	v_rcp_f32_e32 v5, v5                                       // 0000000063CC: 7E0A4505
	v_rcp_f32_e32 v6, v6                                       // 0000000063D0: 7E0C4506
	v_rcp_f32_e32 v7, v7                                       // 0000000063D4: 7E0E4507
	v_mul_f32_e32 v60, v60, v4                                 // 0000000063D8: 0A78093C
	v_mul_f32_e32 v61, v61, v5                                 // 0000000063DC: 0A7A0B3D
	v_mul_f32_e32 v62, v62, v6                                 // 0000000063E0: 0A7C0D3E
	v_mul_f32_e32 v63, v63, v7                                 // 0000000063E4: 0A7E0F3F
	v_mul_f32_e32 v60, v60, v92                                // 0000000063E8: 0A78B93C
	v_mul_f32_e32 v61, v61, v93                                // 0000000063EC: 0A7ABB3D
	v_mul_f32_e32 v62, v62, v94                                // 0000000063F0: 0A7CBD3E
	v_mul_f32_e32 v63, v63, v95                                // 0000000063F4: 0A7EBF3F
	v_pk_mul_f32 v[4:5], v[64:65], v[64:65]                    // 0000000063F8: D3B14004 18028140
	v_pk_mul_f32 v[6:7], v[66:67], v[66:67]                    // 000000006400: D3B14006 18028542
	v_pk_fma_f32 v[4:5], v[4:5], s[78:79], v[8:9]              // 000000006408: D3B04004 1C209D04
	v_pk_fma_f32 v[6:7], v[6:7], s[78:79], v[8:9]              // 000000006410: D3B04006 1C209D06
	v_pk_mul_f32 v[4:5], v[4:5], v[64:65]                      // 000000006418: D3B14004 18028104
	v_pk_mul_f32 v[6:7], v[6:7], v[66:67]                      // 000000006420: D3B14006 18028506
	v_pk_mul_f32 v[4:5], v[4:5], s[60:61]                      // 000000006428: D3B14004 18007904
	v_pk_mul_f32 v[6:7], v[6:7], s[60:61]                      // 000000006430: D3B14006 18007906
	v_exp_f32_e32 v4, v4                                       // 000000006438: 7E084104
	v_exp_f32_e32 v5, v5                                       // 00000000643C: 7E0A4105
	v_exp_f32_e32 v6, v6                                       // 000000006440: 7E0C4106
	v_exp_f32_e32 v7, v7                                       // 000000006444: 7E0E4107
	v_add_f32_e64 v4, v4, 1.0                                  // 000000006448: D1010004 0001E504
	v_add_f32_e64 v5, v5, 1.0                                  // 000000006450: D1010005 0001E505
	v_add_f32_e64 v6, v6, 1.0                                  // 000000006458: D1010006 0001E506
	v_add_f32_e64 v7, v7, 1.0                                  // 000000006460: D1010007 0001E507
	v_rcp_f32_e32 v4, v4                                       // 000000006468: 7E084504
	v_rcp_f32_e32 v5, v5                                       // 00000000646C: 7E0A4505
	v_rcp_f32_e32 v6, v6                                       // 000000006470: 7E0C4506
	v_rcp_f32_e32 v7, v7                                       // 000000006474: 7E0E4507
	v_mul_f32_e32 v64, v64, v4                                 // 000000006478: 0A800940
	v_mul_f32_e32 v65, v65, v5                                 // 00000000647C: 0A820B41
	v_mul_f32_e32 v66, v66, v6                                 // 000000006480: 0A840D42
	v_mul_f32_e32 v67, v67, v7                                 // 000000006484: 0A860F43
	v_mul_f32_e32 v64, v64, v96                                // 000000006488: 0A80C140
	v_mul_f32_e32 v65, v65, v97                                // 00000000648C: 0A82C341
	v_mul_f32_e32 v66, v66, v98                                // 000000006490: 0A84C542
	v_mul_f32_e32 v67, v67, v99                                // 000000006494: 0A86C743
	v_pk_mul_f32 v[4:5], v[68:69], v[68:69]                    // 000000006498: D3B14004 18028944
	v_pk_mul_f32 v[6:7], v[70:71], v[70:71]                    // 0000000064A0: D3B14006 18028D46
	v_pk_fma_f32 v[4:5], v[4:5], s[78:79], v[8:9]              // 0000000064A8: D3B04004 1C209D04
	v_pk_fma_f32 v[6:7], v[6:7], s[78:79], v[8:9]              // 0000000064B0: D3B04006 1C209D06
	v_pk_mul_f32 v[4:5], v[4:5], v[68:69]                      // 0000000064B8: D3B14004 18028904
	v_pk_mul_f32 v[6:7], v[6:7], v[70:71]                      // 0000000064C0: D3B14006 18028D06
	v_pk_mul_f32 v[4:5], v[4:5], s[60:61]                      // 0000000064C8: D3B14004 18007904
	v_pk_mul_f32 v[6:7], v[6:7], s[60:61]                      // 0000000064D0: D3B14006 18007906
	v_exp_f32_e32 v4, v4                                       // 0000000064D8: 7E084104
	v_exp_f32_e32 v5, v5                                       // 0000000064DC: 7E0A4105
	v_exp_f32_e32 v6, v6                                       // 0000000064E0: 7E0C4106
	v_exp_f32_e32 v7, v7                                       // 0000000064E4: 7E0E4107
	v_add_f32_e64 v4, v4, 1.0                                  // 0000000064E8: D1010004 0001E504
	v_add_f32_e64 v5, v5, 1.0                                  // 0000000064F0: D1010005 0001E505
	v_add_f32_e64 v6, v6, 1.0                                  // 0000000064F8: D1010006 0001E506
	v_add_f32_e64 v7, v7, 1.0                                  // 000000006500: D1010007 0001E507
	v_rcp_f32_e32 v4, v4                                       // 000000006508: 7E084504
	v_rcp_f32_e32 v5, v5                                       // 00000000650C: 7E0A4505
	v_rcp_f32_e32 v6, v6                                       // 000000006510: 7E0C4506
	v_rcp_f32_e32 v7, v7                                       // 000000006514: 7E0E4507
	v_mul_f32_e32 v68, v68, v4                                 // 000000006518: 0A880944
	v_mul_f32_e32 v69, v69, v5                                 // 00000000651C: 0A8A0B45
	v_mul_f32_e32 v70, v70, v6                                 // 000000006520: 0A8C0D46
	v_mul_f32_e32 v71, v71, v7                                 // 000000006524: 0A8E0F47
	v_mul_f32_e32 v68, v68, v100                               // 000000006528: 0A88C944
	v_mul_f32_e32 v69, v69, v101                               // 00000000652C: 0A8ACB45
	v_mul_f32_e32 v70, v70, v102                               // 000000006530: 0A8CCD46
	v_mul_f32_e32 v71, v71, v103                               // 000000006534: 0A8ECF47
	v_pk_mul_f32 v[4:5], v[72:73], v[72:73]                    // 000000006538: D3B14004 18029148
	v_pk_mul_f32 v[6:7], v[74:75], v[74:75]                    // 000000006540: D3B14006 1802954A
	v_pk_fma_f32 v[4:5], v[4:5], s[78:79], v[8:9]              // 000000006548: D3B04004 1C209D04
	v_pk_fma_f32 v[6:7], v[6:7], s[78:79], v[8:9]              // 000000006550: D3B04006 1C209D06
	v_pk_mul_f32 v[4:5], v[4:5], v[72:73]                      // 000000006558: D3B14004 18029104
	v_pk_mul_f32 v[6:7], v[6:7], v[74:75]                      // 000000006560: D3B14006 18029506
	v_pk_mul_f32 v[4:5], v[4:5], s[60:61]                      // 000000006568: D3B14004 18007904
	v_pk_mul_f32 v[6:7], v[6:7], s[60:61]                      // 000000006570: D3B14006 18007906
	v_exp_f32_e32 v4, v4                                       // 000000006578: 7E084104
	v_exp_f32_e32 v5, v5                                       // 00000000657C: 7E0A4105
	v_exp_f32_e32 v6, v6                                       // 000000006580: 7E0C4106
	v_exp_f32_e32 v7, v7                                       // 000000006584: 7E0E4107
	v_add_f32_e64 v4, v4, 1.0                                  // 000000006588: D1010004 0001E504
	v_add_f32_e64 v5, v5, 1.0                                  // 000000006590: D1010005 0001E505
	v_add_f32_e64 v6, v6, 1.0                                  // 000000006598: D1010006 0001E506
	v_add_f32_e64 v7, v7, 1.0                                  // 0000000065A0: D1010007 0001E507
	v_rcp_f32_e32 v4, v4                                       // 0000000065A8: 7E084504
	v_rcp_f32_e32 v5, v5                                       // 0000000065AC: 7E0A4505
	v_rcp_f32_e32 v6, v6                                       // 0000000065B0: 7E0C4506
	v_rcp_f32_e32 v7, v7                                       // 0000000065B4: 7E0E4507
	v_mul_f32_e32 v72, v72, v4                                 // 0000000065B8: 0A900948
	v_mul_f32_e32 v73, v73, v5                                 // 0000000065BC: 0A920B49
	v_mul_f32_e32 v74, v74, v6                                 // 0000000065C0: 0A940D4A
	v_mul_f32_e32 v75, v75, v7                                 // 0000000065C4: 0A960F4B
	v_mul_f32_e32 v72, v72, v104                               // 0000000065C8: 0A90D148
	v_mul_f32_e32 v73, v73, v105                               // 0000000065CC: 0A92D349
	v_mul_f32_e32 v74, v74, v106                               // 0000000065D0: 0A94D54A
	v_mul_f32_e32 v75, v75, v107                               // 0000000065D4: 0A96D74B
	s_branch label_0FFA                                        // 0000000065D8: BF820100

00000000000065dc <label_0EFA>:
	v_mul_f32_e64 v4, -v44, s6                                 // 0000000065DC: D1050004 20000D2C
	v_mul_f32_e64 v5, -v45, s6                                 // 0000000065E4: D1050005 20000D2D
	v_mul_f32_e64 v6, -v46, s6                                 // 0000000065EC: D1050006 20000D2E
	v_mul_f32_e64 v7, -v47, s6                                 // 0000000065F4: D1050007 20000D2F
	v_exp_f32_e32 v4, v4                                       // 0000000065FC: 7E084104
	v_exp_f32_e32 v5, v5                                       // 000000006600: 7E0A4105
	v_exp_f32_e32 v6, v6                                       // 000000006604: 7E0C4106
	v_exp_f32_e32 v7, v7                                       // 000000006608: 7E0E4107
	v_add_f32_e64 v4, v4, 1.0                                  // 00000000660C: D1010004 0001E504
	v_add_f32_e64 v5, v5, 1.0                                  // 000000006614: D1010005 0001E505
	v_add_f32_e64 v6, v6, 1.0                                  // 00000000661C: D1010006 0001E506
	v_add_f32_e64 v7, v7, 1.0                                  // 000000006624: D1010007 0001E507
	v_rcp_f32_e32 v4, v4                                       // 00000000662C: 7E084504
	v_rcp_f32_e32 v5, v5                                       // 000000006630: 7E0A4505
	v_rcp_f32_e32 v6, v6                                       // 000000006634: 7E0C4506
	v_rcp_f32_e32 v7, v7                                       // 000000006638: 7E0E4507
	v_mul_f32_e32 v44, v44, v4                                 // 00000000663C: 0A58092C
	v_mul_f32_e32 v45, v45, v5                                 // 000000006640: 0A5A0B2D
	v_mul_f32_e32 v46, v46, v6                                 // 000000006644: 0A5C0D2E
	v_mul_f32_e32 v47, v47, v7                                 // 000000006648: 0A5E0F2F
	v_mul_f32_e32 v44, v44, v76                                // 00000000664C: 0A58992C
	v_mul_f32_e32 v45, v45, v77                                // 000000006650: 0A5A9B2D
	v_mul_f32_e32 v46, v46, v78                                // 000000006654: 0A5C9D2E
	v_mul_f32_e32 v47, v47, v79                                // 000000006658: 0A5E9F2F
	v_mul_f32_e64 v4, -v48, s6                                 // 00000000665C: D1050004 20000D30
	v_mul_f32_e64 v5, -v49, s6                                 // 000000006664: D1050005 20000D31
	v_mul_f32_e64 v6, -v50, s6                                 // 00000000666C: D1050006 20000D32
	v_mul_f32_e64 v7, -v51, s6                                 // 000000006674: D1050007 20000D33
	v_exp_f32_e32 v4, v4                                       // 00000000667C: 7E084104
	v_exp_f32_e32 v5, v5                                       // 000000006680: 7E0A4105
	v_exp_f32_e32 v6, v6                                       // 000000006684: 7E0C4106
	v_exp_f32_e32 v7, v7                                       // 000000006688: 7E0E4107
	v_add_f32_e64 v4, v4, 1.0                                  // 00000000668C: D1010004 0001E504
	v_add_f32_e64 v5, v5, 1.0                                  // 000000006694: D1010005 0001E505
	v_add_f32_e64 v6, v6, 1.0                                  // 00000000669C: D1010006 0001E506
	v_add_f32_e64 v7, v7, 1.0                                  // 0000000066A4: D1010007 0001E507
	v_rcp_f32_e32 v4, v4                                       // 0000000066AC: 7E084504
	v_rcp_f32_e32 v5, v5                                       // 0000000066B0: 7E0A4505
	v_rcp_f32_e32 v6, v6                                       // 0000000066B4: 7E0C4506
	v_rcp_f32_e32 v7, v7                                       // 0000000066B8: 7E0E4507
	v_mul_f32_e32 v48, v48, v4                                 // 0000000066BC: 0A600930
	v_mul_f32_e32 v49, v49, v5                                 // 0000000066C0: 0A620B31
	v_mul_f32_e32 v50, v50, v6                                 // 0000000066C4: 0A640D32
	v_mul_f32_e32 v51, v51, v7                                 // 0000000066C8: 0A660F33
	v_mul_f32_e32 v48, v48, v80                                // 0000000066CC: 0A60A130
	v_mul_f32_e32 v49, v49, v81                                // 0000000066D0: 0A62A331
	v_mul_f32_e32 v50, v50, v82                                // 0000000066D4: 0A64A532
	v_mul_f32_e32 v51, v51, v83                                // 0000000066D8: 0A66A733
	v_mul_f32_e64 v4, -v52, s6                                 // 0000000066DC: D1050004 20000D34
	v_mul_f32_e64 v5, -v53, s6                                 // 0000000066E4: D1050005 20000D35
	v_mul_f32_e64 v6, -v54, s6                                 // 0000000066EC: D1050006 20000D36
	v_mul_f32_e64 v7, -v55, s6                                 // 0000000066F4: D1050007 20000D37
	v_exp_f32_e32 v4, v4                                       // 0000000066FC: 7E084104
	v_exp_f32_e32 v5, v5                                       // 000000006700: 7E0A4105
	v_exp_f32_e32 v6, v6                                       // 000000006704: 7E0C4106
	v_exp_f32_e32 v7, v7                                       // 000000006708: 7E0E4107
	v_add_f32_e64 v4, v4, 1.0                                  // 00000000670C: D1010004 0001E504
	v_add_f32_e64 v5, v5, 1.0                                  // 000000006714: D1010005 0001E505
	v_add_f32_e64 v6, v6, 1.0                                  // 00000000671C: D1010006 0001E506
	v_add_f32_e64 v7, v7, 1.0                                  // 000000006724: D1010007 0001E507
	v_rcp_f32_e32 v4, v4                                       // 00000000672C: 7E084504
	v_rcp_f32_e32 v5, v5                                       // 000000006730: 7E0A4505
	v_rcp_f32_e32 v6, v6                                       // 000000006734: 7E0C4506
	v_rcp_f32_e32 v7, v7                                       // 000000006738: 7E0E4507
	v_mul_f32_e32 v52, v52, v4                                 // 00000000673C: 0A680934
	v_mul_f32_e32 v53, v53, v5                                 // 000000006740: 0A6A0B35
	v_mul_f32_e32 v54, v54, v6                                 // 000000006744: 0A6C0D36
	v_mul_f32_e32 v55, v55, v7                                 // 000000006748: 0A6E0F37
	v_mul_f32_e32 v52, v52, v84                                // 00000000674C: 0A68A934
	v_mul_f32_e32 v53, v53, v85                                // 000000006750: 0A6AAB35
	v_mul_f32_e32 v54, v54, v86                                // 000000006754: 0A6CAD36
	v_mul_f32_e32 v55, v55, v87                                // 000000006758: 0A6EAF37
	v_mul_f32_e64 v4, -v56, s6                                 // 00000000675C: D1050004 20000D38
	v_mul_f32_e64 v5, -v57, s6                                 // 000000006764: D1050005 20000D39
	v_mul_f32_e64 v6, -v58, s6                                 // 00000000676C: D1050006 20000D3A
	v_mul_f32_e64 v7, -v59, s6                                 // 000000006774: D1050007 20000D3B
	v_exp_f32_e32 v4, v4                                       // 00000000677C: 7E084104
	v_exp_f32_e32 v5, v5                                       // 000000006780: 7E0A4105
	v_exp_f32_e32 v6, v6                                       // 000000006784: 7E0C4106
	v_exp_f32_e32 v7, v7                                       // 000000006788: 7E0E4107
	v_add_f32_e64 v4, v4, 1.0                                  // 00000000678C: D1010004 0001E504
	v_add_f32_e64 v5, v5, 1.0                                  // 000000006794: D1010005 0001E505
	v_add_f32_e64 v6, v6, 1.0                                  // 00000000679C: D1010006 0001E506
	v_add_f32_e64 v7, v7, 1.0                                  // 0000000067A4: D1010007 0001E507
	v_rcp_f32_e32 v4, v4                                       // 0000000067AC: 7E084504
	v_rcp_f32_e32 v5, v5                                       // 0000000067B0: 7E0A4505
	v_rcp_f32_e32 v6, v6                                       // 0000000067B4: 7E0C4506
	v_rcp_f32_e32 v7, v7                                       // 0000000067B8: 7E0E4507
	v_mul_f32_e32 v56, v56, v4                                 // 0000000067BC: 0A700938
	v_mul_f32_e32 v57, v57, v5                                 // 0000000067C0: 0A720B39
	v_mul_f32_e32 v58, v58, v6                                 // 0000000067C4: 0A740D3A
	v_mul_f32_e32 v59, v59, v7                                 // 0000000067C8: 0A760F3B
	v_mul_f32_e32 v56, v56, v88                                // 0000000067CC: 0A70B138
	v_mul_f32_e32 v57, v57, v89                                // 0000000067D0: 0A72B339
	v_mul_f32_e32 v58, v58, v90                                // 0000000067D4: 0A74B53A
	v_mul_f32_e32 v59, v59, v91                                // 0000000067D8: 0A76B73B
	v_mul_f32_e64 v4, -v60, s6                                 // 0000000067DC: D1050004 20000D3C
	v_mul_f32_e64 v5, -v61, s6                                 // 0000000067E4: D1050005 20000D3D
	v_mul_f32_e64 v6, -v62, s6                                 // 0000000067EC: D1050006 20000D3E
	v_mul_f32_e64 v7, -v63, s6                                 // 0000000067F4: D1050007 20000D3F
	v_exp_f32_e32 v4, v4                                       // 0000000067FC: 7E084104
	v_exp_f32_e32 v5, v5                                       // 000000006800: 7E0A4105
	v_exp_f32_e32 v6, v6                                       // 000000006804: 7E0C4106
	v_exp_f32_e32 v7, v7                                       // 000000006808: 7E0E4107
	v_add_f32_e64 v4, v4, 1.0                                  // 00000000680C: D1010004 0001E504
	v_add_f32_e64 v5, v5, 1.0                                  // 000000006814: D1010005 0001E505
	v_add_f32_e64 v6, v6, 1.0                                  // 00000000681C: D1010006 0001E506
	v_add_f32_e64 v7, v7, 1.0                                  // 000000006824: D1010007 0001E507
	v_rcp_f32_e32 v4, v4                                       // 00000000682C: 7E084504
	v_rcp_f32_e32 v5, v5                                       // 000000006830: 7E0A4505
	v_rcp_f32_e32 v6, v6                                       // 000000006834: 7E0C4506
	v_rcp_f32_e32 v7, v7                                       // 000000006838: 7E0E4507
	v_mul_f32_e32 v60, v60, v4                                 // 00000000683C: 0A78093C
	v_mul_f32_e32 v61, v61, v5                                 // 000000006840: 0A7A0B3D
	v_mul_f32_e32 v62, v62, v6                                 // 000000006844: 0A7C0D3E
	v_mul_f32_e32 v63, v63, v7                                 // 000000006848: 0A7E0F3F
	v_mul_f32_e32 v60, v60, v92                                // 00000000684C: 0A78B93C
	v_mul_f32_e32 v61, v61, v93                                // 000000006850: 0A7ABB3D
	v_mul_f32_e32 v62, v62, v94                                // 000000006854: 0A7CBD3E
	v_mul_f32_e32 v63, v63, v95                                // 000000006858: 0A7EBF3F
	v_mul_f32_e64 v4, -v64, s6                                 // 00000000685C: D1050004 20000D40
	v_mul_f32_e64 v5, -v65, s6                                 // 000000006864: D1050005 20000D41
	v_mul_f32_e64 v6, -v66, s6                                 // 00000000686C: D1050006 20000D42
	v_mul_f32_e64 v7, -v67, s6                                 // 000000006874: D1050007 20000D43
	v_exp_f32_e32 v4, v4                                       // 00000000687C: 7E084104
	v_exp_f32_e32 v5, v5                                       // 000000006880: 7E0A4105
	v_exp_f32_e32 v6, v6                                       // 000000006884: 7E0C4106
	v_exp_f32_e32 v7, v7                                       // 000000006888: 7E0E4107
	v_add_f32_e64 v4, v4, 1.0                                  // 00000000688C: D1010004 0001E504
	v_add_f32_e64 v5, v5, 1.0                                  // 000000006894: D1010005 0001E505
	v_add_f32_e64 v6, v6, 1.0                                  // 00000000689C: D1010006 0001E506
	v_add_f32_e64 v7, v7, 1.0                                  // 0000000068A4: D1010007 0001E507
	v_rcp_f32_e32 v4, v4                                       // 0000000068AC: 7E084504
	v_rcp_f32_e32 v5, v5                                       // 0000000068B0: 7E0A4505
	v_rcp_f32_e32 v6, v6                                       // 0000000068B4: 7E0C4506
	v_rcp_f32_e32 v7, v7                                       // 0000000068B8: 7E0E4507
	v_mul_f32_e32 v64, v64, v4                                 // 0000000068BC: 0A800940
	v_mul_f32_e32 v65, v65, v5                                 // 0000000068C0: 0A820B41
	v_mul_f32_e32 v66, v66, v6                                 // 0000000068C4: 0A840D42
	v_mul_f32_e32 v67, v67, v7                                 // 0000000068C8: 0A860F43
	v_mul_f32_e32 v64, v64, v96                                // 0000000068CC: 0A80C140
	v_mul_f32_e32 v65, v65, v97                                // 0000000068D0: 0A82C341
	v_mul_f32_e32 v66, v66, v98                                // 0000000068D4: 0A84C542
	v_mul_f32_e32 v67, v67, v99                                // 0000000068D8: 0A86C743
	v_mul_f32_e64 v4, -v68, s6                                 // 0000000068DC: D1050004 20000D44
	v_mul_f32_e64 v5, -v69, s6                                 // 0000000068E4: D1050005 20000D45
	v_mul_f32_e64 v6, -v70, s6                                 // 0000000068EC: D1050006 20000D46
	v_mul_f32_e64 v7, -v71, s6                                 // 0000000068F4: D1050007 20000D47
	v_exp_f32_e32 v4, v4                                       // 0000000068FC: 7E084104
	v_exp_f32_e32 v5, v5                                       // 000000006900: 7E0A4105
	v_exp_f32_e32 v6, v6                                       // 000000006904: 7E0C4106
	v_exp_f32_e32 v7, v7                                       // 000000006908: 7E0E4107
	v_add_f32_e64 v4, v4, 1.0                                  // 00000000690C: D1010004 0001E504
	v_add_f32_e64 v5, v5, 1.0                                  // 000000006914: D1010005 0001E505
	v_add_f32_e64 v6, v6, 1.0                                  // 00000000691C: D1010006 0001E506
	v_add_f32_e64 v7, v7, 1.0                                  // 000000006924: D1010007 0001E507
	v_rcp_f32_e32 v4, v4                                       // 00000000692C: 7E084504
	v_rcp_f32_e32 v5, v5                                       // 000000006930: 7E0A4505
	v_rcp_f32_e32 v6, v6                                       // 000000006934: 7E0C4506
	v_rcp_f32_e32 v7, v7                                       // 000000006938: 7E0E4507
	v_mul_f32_e32 v68, v68, v4                                 // 00000000693C: 0A880944
	v_mul_f32_e32 v69, v69, v5                                 // 000000006940: 0A8A0B45
	v_mul_f32_e32 v70, v70, v6                                 // 000000006944: 0A8C0D46
	v_mul_f32_e32 v71, v71, v7                                 // 000000006948: 0A8E0F47
	v_mul_f32_e32 v68, v68, v100                               // 00000000694C: 0A88C944
	v_mul_f32_e32 v69, v69, v101                               // 000000006950: 0A8ACB45
	v_mul_f32_e32 v70, v70, v102                               // 000000006954: 0A8CCD46
	v_mul_f32_e32 v71, v71, v103                               // 000000006958: 0A8ECF47
	v_mul_f32_e64 v4, -v72, s6                                 // 00000000695C: D1050004 20000D48
	v_mul_f32_e64 v5, -v73, s6                                 // 000000006964: D1050005 20000D49
	v_mul_f32_e64 v6, -v74, s6                                 // 00000000696C: D1050006 20000D4A
	v_mul_f32_e64 v7, -v75, s6                                 // 000000006974: D1050007 20000D4B
	v_exp_f32_e32 v4, v4                                       // 00000000697C: 7E084104
	v_exp_f32_e32 v5, v5                                       // 000000006980: 7E0A4105
	v_exp_f32_e32 v6, v6                                       // 000000006984: 7E0C4106
	v_exp_f32_e32 v7, v7                                       // 000000006988: 7E0E4107
	v_add_f32_e64 v4, v4, 1.0                                  // 00000000698C: D1010004 0001E504
	v_add_f32_e64 v5, v5, 1.0                                  // 000000006994: D1010005 0001E505
	v_add_f32_e64 v6, v6, 1.0                                  // 00000000699C: D1010006 0001E506
	v_add_f32_e64 v7, v7, 1.0                                  // 0000000069A4: D1010007 0001E507
	v_rcp_f32_e32 v4, v4                                       // 0000000069AC: 7E084504
	v_rcp_f32_e32 v5, v5                                       // 0000000069B0: 7E0A4505
	v_rcp_f32_e32 v6, v6                                       // 0000000069B4: 7E0C4506
	v_rcp_f32_e32 v7, v7                                       // 0000000069B8: 7E0E4507
	v_mul_f32_e32 v72, v72, v4                                 // 0000000069BC: 0A900948
	v_mul_f32_e32 v73, v73, v5                                 // 0000000069C0: 0A920B49
	v_mul_f32_e32 v74, v74, v6                                 // 0000000069C4: 0A940D4A
	v_mul_f32_e32 v75, v75, v7                                 // 0000000069C8: 0A960F4B
	v_mul_f32_e32 v72, v72, v104                               // 0000000069CC: 0A90D148
	v_mul_f32_e32 v73, v73, v105                               // 0000000069D0: 0A92D349
	v_mul_f32_e32 v74, v74, v106                               // 0000000069D4: 0A94D54A
	v_mul_f32_e32 v75, v75, v107                               // 0000000069D8: 0A96D74B

00000000000069dc <label_0FFA>:
	v_cmp_u_f32_e64 s[46:47], v44, v44                         // 0000000069DC: D048002E 0002592C
	v_add3_u32 v16, v44, v19, 1                                // 0000000069E4: D1FF0010 0206272C
	v_cndmask_b32_e64 v4, v16, v18, s[46:47]                   // 0000000069EC: D1000004 00BA2510
	v_cmp_u_f32_e64 s[46:47], v45, v45                         // 0000000069F4: D048002E 00025B2D
	v_add3_u32 v16, v45, v19, 1                                // 0000000069FC: D1FF0010 0206272D
	v_cndmask_b32_e64 v5, v16, v18, s[46:47]                   // 000000006A04: D1000005 00BA2510
	v_perm_b32 v44, v5, v4, s52                                // 000000006A0C: D1ED002C 00D20905
	v_cmp_u_f32_e64 s[46:47], v46, v46                         // 000000006A14: D048002E 00025D2E
	v_add3_u32 v16, v46, v19, 1                                // 000000006A1C: D1FF0010 0206272E
	v_cndmask_b32_e64 v4, v16, v18, s[46:47]                   // 000000006A24: D1000004 00BA2510
	v_cmp_u_f32_e64 s[46:47], v47, v47                         // 000000006A2C: D048002E 00025F2F
	v_add3_u32 v16, v47, v19, 1                                // 000000006A34: D1FF0010 0206272F
	v_cndmask_b32_e64 v5, v16, v18, s[46:47]                   // 000000006A3C: D1000005 00BA2510
	v_perm_b32 v45, v5, v4, s52                                // 000000006A44: D1ED002D 00D20905
	v_cmp_u_f32_e64 s[46:47], v48, v48                         // 000000006A4C: D048002E 00026130
	v_add3_u32 v16, v48, v19, 1                                // 000000006A54: D1FF0010 02062730
	v_cndmask_b32_e64 v4, v16, v18, s[46:47]                   // 000000006A5C: D1000004 00BA2510
	v_cmp_u_f32_e64 s[46:47], v49, v49                         // 000000006A64: D048002E 00026331
	v_add3_u32 v16, v49, v19, 1                                // 000000006A6C: D1FF0010 02062731
	v_cndmask_b32_e64 v5, v16, v18, s[46:47]                   // 000000006A74: D1000005 00BA2510
	v_perm_b32 v46, v5, v4, s52                                // 000000006A7C: D1ED002E 00D20905
	v_cmp_u_f32_e64 s[46:47], v50, v50                         // 000000006A84: D048002E 00026532
	v_add3_u32 v16, v50, v19, 1                                // 000000006A8C: D1FF0010 02062732
	v_cndmask_b32_e64 v4, v16, v18, s[46:47]                   // 000000006A94: D1000004 00BA2510
	v_cmp_u_f32_e64 s[46:47], v51, v51                         // 000000006A9C: D048002E 00026733
	v_add3_u32 v16, v51, v19, 1                                // 000000006AA4: D1FF0010 02062733
	v_cndmask_b32_e64 v5, v16, v18, s[46:47]                   // 000000006AAC: D1000005 00BA2510
	v_perm_b32 v47, v5, v4, s52                                // 000000006AB4: D1ED002F 00D20905
	v_cmp_u_f32_e64 s[46:47], v52, v52                         // 000000006ABC: D048002E 00026934
	v_add3_u32 v16, v52, v19, 1                                // 000000006AC4: D1FF0010 02062734
	v_cndmask_b32_e64 v4, v16, v18, s[46:47]                   // 000000006ACC: D1000004 00BA2510
	v_cmp_u_f32_e64 s[46:47], v53, v53                         // 000000006AD4: D048002E 00026B35
	v_add3_u32 v16, v53, v19, 1                                // 000000006ADC: D1FF0010 02062735
	v_cndmask_b32_e64 v5, v16, v18, s[46:47]                   // 000000006AE4: D1000005 00BA2510
	v_perm_b32 v48, v5, v4, s52                                // 000000006AEC: D1ED0030 00D20905
	v_cmp_u_f32_e64 s[46:47], v54, v54                         // 000000006AF4: D048002E 00026D36
	v_add3_u32 v16, v54, v19, 1                                // 000000006AFC: D1FF0010 02062736
	v_cndmask_b32_e64 v4, v16, v18, s[46:47]                   // 000000006B04: D1000004 00BA2510
	v_cmp_u_f32_e64 s[46:47], v55, v55                         // 000000006B0C: D048002E 00026F37
	v_add3_u32 v16, v55, v19, 1                                // 000000006B14: D1FF0010 02062737
	v_cndmask_b32_e64 v5, v16, v18, s[46:47]                   // 000000006B1C: D1000005 00BA2510
	v_perm_b32 v49, v5, v4, s52                                // 000000006B24: D1ED0031 00D20905
	v_cmp_u_f32_e64 s[46:47], v56, v56                         // 000000006B2C: D048002E 00027138
	v_add3_u32 v16, v56, v19, 1                                // 000000006B34: D1FF0010 02062738
	v_cndmask_b32_e64 v4, v16, v18, s[46:47]                   // 000000006B3C: D1000004 00BA2510
	v_cmp_u_f32_e64 s[46:47], v57, v57                         // 000000006B44: D048002E 00027339
	v_add3_u32 v16, v57, v19, 1                                // 000000006B4C: D1FF0010 02062739
	v_cndmask_b32_e64 v5, v16, v18, s[46:47]                   // 000000006B54: D1000005 00BA2510
	v_perm_b32 v50, v5, v4, s52                                // 000000006B5C: D1ED0032 00D20905
	v_cmp_u_f32_e64 s[46:47], v58, v58                         // 000000006B64: D048002E 0002753A
	v_add3_u32 v16, v58, v19, 1                                // 000000006B6C: D1FF0010 0206273A
	v_cndmask_b32_e64 v4, v16, v18, s[46:47]                   // 000000006B74: D1000004 00BA2510
	v_cmp_u_f32_e64 s[46:47], v59, v59                         // 000000006B7C: D048002E 0002773B
	v_add3_u32 v16, v59, v19, 1                                // 000000006B84: D1FF0010 0206273B
	v_cndmask_b32_e64 v5, v16, v18, s[46:47]                   // 000000006B8C: D1000005 00BA2510
	v_perm_b32 v51, v5, v4, s52                                // 000000006B94: D1ED0033 00D20905
	v_cmp_u_f32_e64 s[46:47], v60, v60                         // 000000006B9C: D048002E 0002793C
	v_add3_u32 v16, v60, v19, 1                                // 000000006BA4: D1FF0010 0206273C
	v_cndmask_b32_e64 v4, v16, v18, s[46:47]                   // 000000006BAC: D1000004 00BA2510
	v_cmp_u_f32_e64 s[46:47], v61, v61                         // 000000006BB4: D048002E 00027B3D
	v_add3_u32 v16, v61, v19, 1                                // 000000006BBC: D1FF0010 0206273D
	v_cndmask_b32_e64 v5, v16, v18, s[46:47]                   // 000000006BC4: D1000005 00BA2510
	v_perm_b32 v52, v5, v4, s52                                // 000000006BCC: D1ED0034 00D20905
	v_cmp_u_f32_e64 s[46:47], v62, v62                         // 000000006BD4: D048002E 00027D3E
	v_add3_u32 v16, v62, v19, 1                                // 000000006BDC: D1FF0010 0206273E
	v_cndmask_b32_e64 v4, v16, v18, s[46:47]                   // 000000006BE4: D1000004 00BA2510
	v_cmp_u_f32_e64 s[46:47], v63, v63                         // 000000006BEC: D048002E 00027F3F
	v_add3_u32 v16, v63, v19, 1                                // 000000006BF4: D1FF0010 0206273F
	v_cndmask_b32_e64 v5, v16, v18, s[46:47]                   // 000000006BFC: D1000005 00BA2510
	v_perm_b32 v53, v5, v4, s52                                // 000000006C04: D1ED0035 00D20905
	v_cmp_u_f32_e64 s[46:47], v64, v64                         // 000000006C0C: D048002E 00028140
	v_add3_u32 v16, v64, v19, 1                                // 000000006C14: D1FF0010 02062740
	v_cndmask_b32_e64 v4, v16, v18, s[46:47]                   // 000000006C1C: D1000004 00BA2510
	v_cmp_u_f32_e64 s[46:47], v65, v65                         // 000000006C24: D048002E 00028341
	v_add3_u32 v16, v65, v19, 1                                // 000000006C2C: D1FF0010 02062741
	v_cndmask_b32_e64 v5, v16, v18, s[46:47]                   // 000000006C34: D1000005 00BA2510
	v_perm_b32 v54, v5, v4, s52                                // 000000006C3C: D1ED0036 00D20905
	v_cmp_u_f32_e64 s[46:47], v66, v66                         // 000000006C44: D048002E 00028542
	v_add3_u32 v16, v66, v19, 1                                // 000000006C4C: D1FF0010 02062742
	v_cndmask_b32_e64 v4, v16, v18, s[46:47]                   // 000000006C54: D1000004 00BA2510
	v_cmp_u_f32_e64 s[46:47], v67, v67                         // 000000006C5C: D048002E 00028743
	v_add3_u32 v16, v67, v19, 1                                // 000000006C64: D1FF0010 02062743
	v_cndmask_b32_e64 v5, v16, v18, s[46:47]                   // 000000006C6C: D1000005 00BA2510
	v_perm_b32 v55, v5, v4, s52                                // 000000006C74: D1ED0037 00D20905
	v_cmp_u_f32_e64 s[46:47], v68, v68                         // 000000006C7C: D048002E 00028944
	v_add3_u32 v16, v68, v19, 1                                // 000000006C84: D1FF0010 02062744
	v_cndmask_b32_e64 v4, v16, v18, s[46:47]                   // 000000006C8C: D1000004 00BA2510
	v_cmp_u_f32_e64 s[46:47], v69, v69                         // 000000006C94: D048002E 00028B45
	v_add3_u32 v16, v69, v19, 1                                // 000000006C9C: D1FF0010 02062745
	v_cndmask_b32_e64 v5, v16, v18, s[46:47]                   // 000000006CA4: D1000005 00BA2510
	v_perm_b32 v56, v5, v4, s52                                // 000000006CAC: D1ED0038 00D20905
	v_cmp_u_f32_e64 s[46:47], v70, v70                         // 000000006CB4: D048002E 00028D46
	v_add3_u32 v16, v70, v19, 1                                // 000000006CBC: D1FF0010 02062746
	v_cndmask_b32_e64 v4, v16, v18, s[46:47]                   // 000000006CC4: D1000004 00BA2510
	v_cmp_u_f32_e64 s[46:47], v71, v71                         // 000000006CCC: D048002E 00028F47
	v_add3_u32 v16, v71, v19, 1                                // 000000006CD4: D1FF0010 02062747
	v_cndmask_b32_e64 v5, v16, v18, s[46:47]                   // 000000006CDC: D1000005 00BA2510
	v_perm_b32 v57, v5, v4, s52                                // 000000006CE4: D1ED0039 00D20905
	v_cmp_u_f32_e64 s[46:47], v72, v72                         // 000000006CEC: D048002E 00029148
	v_add3_u32 v16, v72, v19, 1                                // 000000006CF4: D1FF0010 02062748
	v_cndmask_b32_e64 v4, v16, v18, s[46:47]                   // 000000006CFC: D1000004 00BA2510
	v_cmp_u_f32_e64 s[46:47], v73, v73                         // 000000006D04: D048002E 00029349
	v_add3_u32 v16, v73, v19, 1                                // 000000006D0C: D1FF0010 02062749
	v_cndmask_b32_e64 v5, v16, v18, s[46:47]                   // 000000006D14: D1000005 00BA2510
	v_perm_b32 v58, v5, v4, s52                                // 000000006D1C: D1ED003A 00D20905
	v_cmp_u_f32_e64 s[46:47], v74, v74                         // 000000006D24: D048002E 0002954A
	v_add3_u32 v16, v74, v19, 1                                // 000000006D2C: D1FF0010 0206274A
	v_cndmask_b32_e64 v4, v16, v18, s[46:47]                   // 000000006D34: D1000004 00BA2510
	v_cmp_u_f32_e64 s[46:47], v75, v75                         // 000000006D3C: D048002E 0002974B
	v_add3_u32 v16, v75, v19, 1                                // 000000006D44: D1FF0010 0206274B
	v_cndmask_b32_e64 v5, v16, v18, s[46:47]                   // 000000006D4C: D1000005 00BA2510
	v_perm_b32 v59, v5, v4, s52                                // 000000006D54: D1ED003B 00D20905
	ds_write_b64 v20, v[44:45]                                 // 000000006D5C: D89A0000 00002C14
	ds_write_b64 v20, v[46:47] offset:8704                     // 000000006D64: D89A2200 00002E14
	ds_write_b64 v20, v[48:49] offset:2176                     // 000000006D6C: D89A0880 00003014
	ds_write_b64 v20, v[50:51] offset:10880                    // 000000006D74: D89A2A80 00003214
	ds_write_b64 v20, v[52:53] offset:4352                     // 000000006D7C: D89A1100 00003414
	ds_write_b64 v20, v[54:55] offset:13056                    // 000000006D84: D89A3300 00003614
	ds_write_b64 v20, v[56:57] offset:6528                     // 000000006D8C: D89A1980 00003814
	ds_write_b64 v20, v[58:59] offset:15232                    // 000000006D94: D89A3B80 00003A14
	v_lshrrev_b32_e32 v4, 5, v0                                // 000000006D9C: 20080085
	v_xor_b32_e32 v5, 1, v4                                    // 000000006DA0: 2A0A0881
	s_mul_i32 s60, s65, 2                                      // 000000006DA4: 923C8241
	s_cmp_eq_u32 s88, 0                                        // 000000006DA8: BF068058
	s_cselect_b32 s61, 1, 4                                    // 000000006DAC: 853D8481
	s_mul_i32 s60, s61, s60                                    // 000000006DB0: 923C3C3D
	v_readlane_b32 s82, v3, 0                                  // 000000006DB4: D2890052 00010103
	s_lshr_b32 s61, s82, 24                                    // 000000006DBC: 8F3D9852
	s_and_b32 s82, s82, 0xffffff                               // 000000006DC0: 8652FF52 00FFFFFF
	s_mul_i32 s82, s82, s71                                    // 000000006DC8: 92524752
	s_mul_i32 s61, s60, s61                                    // 000000006DCC: 923D3D3C
	s_add_u32 s82, s82, s61                                    // 000000006DD0: 80523D52
	v_mul_lo_u32 v6, v5, s82                                   // 000000006DD4: D2850006 0000A505
	v_readlane_b32 s82, v3, 1                                  // 000000006DDC: D2890052 00010303
	s_lshr_b32 s61, s82, 24                                    // 000000006DE4: 8F3D9852
	s_and_b32 s82, s82, 0xffffff                               // 000000006DE8: 8652FF52 00FFFFFF
	s_mul_i32 s82, s82, s71                                    // 000000006DF0: 92524752
	s_mul_i32 s61, s60, s61                                    // 000000006DF4: 923D3D3C
	s_add_u32 s82, s82, s61                                    // 000000006DF8: 80523D52
	v_mul_lo_u32 v7, v4, s82                                   // 000000006DFC: D2850007 0000A504
	v_add_u32_e32 v36, v6, v7                                  // 000000006E04: 68480F06
	v_readlane_b32 s82, v3, 2                                  // 000000006E08: D2890052 00010503
	s_lshr_b32 s61, s82, 24                                    // 000000006E10: 8F3D9852
	s_and_b32 s82, s82, 0xffffff                               // 000000006E14: 8652FF52 00FFFFFF
	s_mul_i32 s82, s82, s71                                    // 000000006E1C: 92524752
	s_mul_i32 s61, s60, s61                                    // 000000006E20: 923D3D3C
	s_add_u32 s82, s82, s61                                    // 000000006E24: 80523D52
	v_mul_lo_u32 v6, v5, s82                                   // 000000006E28: D2850006 0000A505
	v_readlane_b32 s82, v3, 3                                  // 000000006E30: D2890052 00010703
	s_lshr_b32 s61, s82, 24                                    // 000000006E38: 8F3D9852
	s_and_b32 s82, s82, 0xffffff                               // 000000006E3C: 8652FF52 00FFFFFF
	s_mul_i32 s82, s82, s71                                    // 000000006E44: 92524752
	s_mul_i32 s61, s60, s61                                    // 000000006E48: 923D3D3C
	s_add_u32 s82, s82, s61                                    // 000000006E4C: 80523D52
	v_mul_lo_u32 v7, v4, s82                                   // 000000006E50: D2850007 0000A504
	v_add_u32_e32 v37, v6, v7                                  // 000000006E58: 684A0F06
	v_readlane_b32 s82, v3, 4                                  // 000000006E5C: D2890052 00010903
	s_lshr_b32 s61, s82, 24                                    // 000000006E64: 8F3D9852
	s_and_b32 s82, s82, 0xffffff                               // 000000006E68: 8652FF52 00FFFFFF
	s_mul_i32 s82, s82, s71                                    // 000000006E70: 92524752
	s_mul_i32 s61, s60, s61                                    // 000000006E74: 923D3D3C
	s_add_u32 s82, s82, s61                                    // 000000006E78: 80523D52
	v_mul_lo_u32 v6, v5, s82                                   // 000000006E7C: D2850006 0000A505
	v_readlane_b32 s82, v3, 5                                  // 000000006E84: D2890052 00010B03
	s_lshr_b32 s61, s82, 24                                    // 000000006E8C: 8F3D9852
	s_and_b32 s82, s82, 0xffffff                               // 000000006E90: 8652FF52 00FFFFFF
	s_mul_i32 s82, s82, s71                                    // 000000006E98: 92524752
	s_mul_i32 s61, s60, s61                                    // 000000006E9C: 923D3D3C
	s_add_u32 s82, s82, s61                                    // 000000006EA0: 80523D52
	v_mul_lo_u32 v7, v4, s82                                   // 000000006EA4: D2850007 0000A504
	v_add_u32_e32 v38, v6, v7                                  // 000000006EAC: 684C0F06
	v_readlane_b32 s82, v3, 6                                  // 000000006EB0: D2890052 00010D03
	s_lshr_b32 s61, s82, 24                                    // 000000006EB8: 8F3D9852
	s_and_b32 s82, s82, 0xffffff                               // 000000006EBC: 8652FF52 00FFFFFF
	s_mul_i32 s82, s82, s71                                    // 000000006EC4: 92524752
	s_mul_i32 s61, s60, s61                                    // 000000006EC8: 923D3D3C
	s_add_u32 s82, s82, s61                                    // 000000006ECC: 80523D52
	v_mul_lo_u32 v6, v5, s82                                   // 000000006ED0: D2850006 0000A505
	v_readlane_b32 s82, v3, 7                                  // 000000006ED8: D2890052 00010F03
	s_lshr_b32 s61, s82, 24                                    // 000000006EE0: 8F3D9852
	s_and_b32 s82, s82, 0xffffff                               // 000000006EE4: 8652FF52 00FFFFFF
	s_mul_i32 s82, s82, s71                                    // 000000006EEC: 92524752
	s_mul_i32 s61, s60, s61                                    // 000000006EF0: 923D3D3C
	s_add_u32 s82, s82, s61                                    // 000000006EF4: 80523D52
	v_mul_lo_u32 v7, v4, s82                                   // 000000006EF8: D2850007 0000A504
	v_add_u32_e32 v39, v6, v7                                  // 000000006F00: 684E0F06
	v_and_b32_e32 v4, 31, v0                                   // 000000006F04: 2608009F
	v_lshrrev_b32_e32 v4, 1, v4                                // 000000006F08: 20080881
	s_cmp_eq_u32 s88, 0                                        // 000000006F0C: BF068058
	s_cselect_b32 s61, 2, 4                                    // 000000006F10: 853D8482
	v_mul_lo_u32 v4, v4, s61                                   // 000000006F14: D2850004 00007B04
	v_and_b32_e64 v5, v0, 1                                    // 000000006F1C: D1130005 00010300
	v_add_u32_e32 v4, v4, v5                                   // 000000006F24: 68080B04
	v_lshlrev_b32_e32 v4, 2, v4                                // 000000006F28: 24080882
	v_add_u32_e32 v36, v36, v4                                 // 000000006F2C: 68480924
	v_add_u32_e32 v37, v37, v4                                 // 000000006F30: 684A0925
	v_add_u32_e32 v38, v38, v4                                 // 000000006F34: 684C0926
	v_add_u32_e32 v39, v39, v4                                 // 000000006F38: 684E0927
	s_waitcnt lgkmcnt(0)                                       // 000000006F3C: BF8CC07F
	s_barrier                                                  // 000000006F40: BF8A0000
	ds_read_b32 v44, v21                                       // 000000006F44: D86C0000 2C000015
	ds_read_b32 v45, v21 offset:64                             // 000000006F4C: D86C0040 2D000015
	ds_read_b32 v46, v21 offset:2176                           // 000000006F54: D86C0880 2E000015
	ds_read_b32 v47, v21 offset:2240                           // 000000006F5C: D86C08C0 2F000015
	ds_read_b32 v48, v21 offset:4352                           // 000000006F64: D86C1100 30000015
	ds_read_b32 v49, v21 offset:4416                           // 000000006F6C: D86C1140 31000015
	ds_read_b32 v50, v21 offset:6528                           // 000000006F74: D86C1980 32000015
	ds_read_b32 v51, v21 offset:6592                           // 000000006F7C: D86C19C0 33000015
	ds_read_b32 v52, v21 offset:8704                           // 000000006F84: D86C2200 34000015
	ds_read_b32 v53, v21 offset:8768                           // 000000006F8C: D86C2240 35000015
	ds_read_b32 v54, v21 offset:10880                          // 000000006F94: D86C2A80 36000015
	ds_read_b32 v55, v21 offset:10944                          // 000000006F9C: D86C2AC0 37000015
	ds_read_b32 v56, v21 offset:13056                          // 000000006FA4: D86C3300 38000015
	ds_read_b32 v57, v21 offset:13120                          // 000000006FAC: D86C3340 39000015
	ds_read_b32 v58, v21 offset:15232                          // 000000006FB4: D86C3B80 3A000015
	ds_read_b32 v59, v21 offset:15296                          // 000000006FBC: D86C3BC0 3B000015
	s_waitcnt lgkmcnt(0)                                       // 000000006FC4: BF8CC07F
	s_mov_b32 s36, -1                                          // 000000006FC8: BEA400C1
	s_mov_b32 s37, -1                                          // 000000006FCC: BEA500C1
	v_mov_b32_e32 v7, 0                                        // 000000006FD0: 7E0E0280
	s_or_b32 s9, s9, 0x40000                                   // 000000006FD4: 8709FF09 00040000
	s_mov_b64 exec, s[36:37]                                   // 000000006FDC: BEFE0124
	v_mov_b32_e32 v6, v36                                      // 000000006FE0: 7E0C0324
	s_mov_b64 s[60:61], 0                                      // 000000006FE4: BEBC0180
	v_readlane_b32 s82, v3, 0                                  // 000000006FE8: D2890052 00010103
	s_and_b32 s82, s82, 0xffffff                               // 000000006FF0: 8652FF52 00FFFFFF
	s_cmp_lt_u32 s82, s66                                      // 000000006FF8: BF0A4252
	s_cselect_b32 s20, s36, s60                                // 000000006FFC: 85143C24
	v_readlane_b32 s82, v3, 1                                  // 000000007000: D2890052 00010303
	s_and_b32 s82, s82, 0xffffff                               // 000000007008: 8652FF52 00FFFFFF
	s_cmp_lt_u32 s82, s66                                      // 000000007010: BF0A4252
	s_cselect_b32 s21, s36, s60                                // 000000007014: 85153C24
	s_mov_b64 exec, s[20:21]                                   // 000000007018: BEFE0114
	buffer_store_dword v44, v6, s[8:11], 0 offen               // 00000000701C: E0701000 80022C06
	buffer_store_dword v46, v6, s[8:11], 0 offen offset:128    // 000000007024: E0701080 80022E06
	buffer_store_dword v48, v6, s[8:11], 0 offen offset:256    // 00000000702C: E0701100 80023006
	buffer_store_dword v50, v6, s[8:11], 0 offen offset:384    // 000000007034: E0701180 80023206
	s_mov_b64 exec, s[36:37]                                   // 00000000703C: BEFE0124
	v_mov_b32_e32 v6, v37                                      // 000000007040: 7E0C0325
	s_mov_b64 s[60:61], 0                                      // 000000007044: BEBC0180
	v_readlane_b32 s82, v3, 2                                  // 000000007048: D2890052 00010503
	s_and_b32 s82, s82, 0xffffff                               // 000000007050: 8652FF52 00FFFFFF
	s_cmp_lt_u32 s82, s66                                      // 000000007058: BF0A4252
	s_cselect_b32 s20, s36, s60                                // 00000000705C: 85143C24
	v_readlane_b32 s82, v3, 3                                  // 000000007060: D2890052 00010703
	s_and_b32 s82, s82, 0xffffff                               // 000000007068: 8652FF52 00FFFFFF
	s_cmp_lt_u32 s82, s66                                      // 000000007070: BF0A4252
	s_cselect_b32 s21, s36, s60                                // 000000007074: 85153C24
	s_mov_b64 exec, s[20:21]                                   // 000000007078: BEFE0114
	buffer_store_dword v45, v6, s[8:11], 0 offen               // 00000000707C: E0701000 80022D06
	buffer_store_dword v47, v6, s[8:11], 0 offen offset:128    // 000000007084: E0701080 80022F06
	buffer_store_dword v49, v6, s[8:11], 0 offen offset:256    // 00000000708C: E0701100 80023106
	buffer_store_dword v51, v6, s[8:11], 0 offen offset:384    // 000000007094: E0701180 80023306
	s_mov_b64 exec, s[36:37]                                   // 00000000709C: BEFE0124
	v_mov_b32_e32 v6, v38                                      // 0000000070A0: 7E0C0326
	s_mov_b64 s[60:61], 0                                      // 0000000070A4: BEBC0180
	v_readlane_b32 s82, v3, 4                                  // 0000000070A8: D2890052 00010903
	s_and_b32 s82, s82, 0xffffff                               // 0000000070B0: 8652FF52 00FFFFFF
	s_cmp_lt_u32 s82, s66                                      // 0000000070B8: BF0A4252
	s_cselect_b32 s20, s36, s60                                // 0000000070BC: 85143C24
	v_readlane_b32 s82, v3, 5                                  // 0000000070C0: D2890052 00010B03
	s_and_b32 s82, s82, 0xffffff                               // 0000000070C8: 8652FF52 00FFFFFF
	s_cmp_lt_u32 s82, s66                                      // 0000000070D0: BF0A4252
	s_cselect_b32 s21, s36, s60                                // 0000000070D4: 85153C24
	s_mov_b64 exec, s[20:21]                                   // 0000000070D8: BEFE0114
	buffer_store_dword v52, v6, s[8:11], 0 offen               // 0000000070DC: E0701000 80023406
	buffer_store_dword v54, v6, s[8:11], 0 offen offset:128    // 0000000070E4: E0701080 80023606
	buffer_store_dword v56, v6, s[8:11], 0 offen offset:256    // 0000000070EC: E0701100 80023806
	buffer_store_dword v58, v6, s[8:11], 0 offen offset:384    // 0000000070F4: E0701180 80023A06
	s_mov_b64 exec, s[36:37]                                   // 0000000070FC: BEFE0124
	v_mov_b32_e32 v6, v39                                      // 000000007100: 7E0C0327
	s_mov_b64 s[60:61], 0                                      // 000000007104: BEBC0180
	v_readlane_b32 s82, v3, 6                                  // 000000007108: D2890052 00010D03
	s_and_b32 s82, s82, 0xffffff                               // 000000007110: 8652FF52 00FFFFFF
	s_cmp_lt_u32 s82, s66                                      // 000000007118: BF0A4252
	s_cselect_b32 s20, s36, s60                                // 00000000711C: 85143C24
	v_readlane_b32 s82, v3, 7                                  // 000000007120: D2890052 00010F03
	s_and_b32 s82, s82, 0xffffff                               // 000000007128: 8652FF52 00FFFFFF
	s_cmp_lt_u32 s82, s66                                      // 000000007130: BF0A4252
	s_cselect_b32 s21, s36, s60                                // 000000007134: 85153C24
	s_mov_b64 exec, s[20:21]                                   // 000000007138: BEFE0114
	buffer_store_dword v53, v6, s[8:11], 0 offen               // 00000000713C: E0701000 80023506
	buffer_store_dword v55, v6, s[8:11], 0 offen offset:128    // 000000007144: E0701080 80023706
	buffer_store_dword v57, v6, s[8:11], 0 offen offset:256    // 00000000714C: E0701100 80023906
	buffer_store_dword v59, v6, s[8:11], 0 offen offset:384    // 000000007154: E0701180 80023B06
	s_mov_b64 exec, s[36:37]                                   // 00000000715C: BEFE0124
	s_branch label_149E                                        // 000000007160: BF8202C2

0000000000007164 <label_11DC>:
	ds_write_b64 v20, v[44:45]                                 // 000000007164: D89A0000 00002C14
	ds_write_b64 v20, v[48:49] offset:8704                     // 00000000716C: D89A2200 00003014
	ds_write_b64 v20, v[52:53] offset:2176                     // 000000007174: D89A0880 00003414
	ds_write_b64 v20, v[56:57] offset:10880                    // 00000000717C: D89A2A80 00003814
	ds_write_b64 v20, v[60:61] offset:4352                     // 000000007184: D89A1100 00003C14
	ds_write_b64 v20, v[64:65] offset:13056                    // 00000000718C: D89A3300 00004014
	ds_write_b64 v20, v[68:69] offset:6528                     // 000000007194: D89A1980 00004414
	ds_write_b64 v20, v[72:73] offset:15232                    // 00000000719C: D89A3B80 00004814
	v_lshrrev_b32_e32 v4, 5, v0                                // 0000000071A4: 20080085
	v_xor_b32_e32 v5, 1, v4                                    // 0000000071A8: 2A0A0881
	s_mul_i32 s60, s65, 2                                      // 0000000071AC: 923C8241
	s_cmp_eq_u32 s88, 0                                        // 0000000071B0: BF068058
	s_cselect_b32 s61, 1, 4                                    // 0000000071B4: 853D8481
	s_mul_i32 s60, s61, s60                                    // 0000000071B8: 923C3C3D
	v_readlane_b32 s82, v3, 0                                  // 0000000071BC: D2890052 00010103
	s_lshr_b32 s61, s82, 24                                    // 0000000071C4: 8F3D9852
	s_and_b32 s82, s82, 0xffffff                               // 0000000071C8: 8652FF52 00FFFFFF
	s_mul_i32 s82, s82, s71                                    // 0000000071D0: 92524752
	s_mul_i32 s61, s60, s61                                    // 0000000071D4: 923D3D3C
	s_add_u32 s82, s82, s61                                    // 0000000071D8: 80523D52
	v_mul_lo_u32 v6, v5, s82                                   // 0000000071DC: D2850006 0000A505
	v_readlane_b32 s82, v3, 1                                  // 0000000071E4: D2890052 00010303
	s_lshr_b32 s61, s82, 24                                    // 0000000071EC: 8F3D9852
	s_and_b32 s82, s82, 0xffffff                               // 0000000071F0: 8652FF52 00FFFFFF
	s_mul_i32 s82, s82, s71                                    // 0000000071F8: 92524752
	s_mul_i32 s61, s60, s61                                    // 0000000071FC: 923D3D3C
	s_add_u32 s82, s82, s61                                    // 000000007200: 80523D52
	v_mul_lo_u32 v7, v4, s82                                   // 000000007204: D2850007 0000A504
	v_add_u32_e32 v36, v6, v7                                  // 00000000720C: 68480F06
	v_readlane_b32 s82, v3, 2                                  // 000000007210: D2890052 00010503
	s_lshr_b32 s61, s82, 24                                    // 000000007218: 8F3D9852
	s_and_b32 s82, s82, 0xffffff                               // 00000000721C: 8652FF52 00FFFFFF
	s_mul_i32 s82, s82, s71                                    // 000000007224: 92524752
	s_mul_i32 s61, s60, s61                                    // 000000007228: 923D3D3C
	s_add_u32 s82, s82, s61                                    // 00000000722C: 80523D52
	v_mul_lo_u32 v6, v5, s82                                   // 000000007230: D2850006 0000A505
	v_readlane_b32 s82, v3, 3                                  // 000000007238: D2890052 00010703
	s_lshr_b32 s61, s82, 24                                    // 000000007240: 8F3D9852
	s_and_b32 s82, s82, 0xffffff                               // 000000007244: 8652FF52 00FFFFFF
	s_mul_i32 s82, s82, s71                                    // 00000000724C: 92524752
	s_mul_i32 s61, s60, s61                                    // 000000007250: 923D3D3C
	s_add_u32 s82, s82, s61                                    // 000000007254: 80523D52
	v_mul_lo_u32 v7, v4, s82                                   // 000000007258: D2850007 0000A504
	v_add_u32_e32 v37, v6, v7                                  // 000000007260: 684A0F06
	v_readlane_b32 s82, v3, 4                                  // 000000007264: D2890052 00010903
	s_lshr_b32 s61, s82, 24                                    // 00000000726C: 8F3D9852
	s_and_b32 s82, s82, 0xffffff                               // 000000007270: 8652FF52 00FFFFFF
	s_mul_i32 s82, s82, s71                                    // 000000007278: 92524752
	s_mul_i32 s61, s60, s61                                    // 00000000727C: 923D3D3C
	s_add_u32 s82, s82, s61                                    // 000000007280: 80523D52
	v_mul_lo_u32 v6, v5, s82                                   // 000000007284: D2850006 0000A505
	v_readlane_b32 s82, v3, 5                                  // 00000000728C: D2890052 00010B03
	s_lshr_b32 s61, s82, 24                                    // 000000007294: 8F3D9852
	s_and_b32 s82, s82, 0xffffff                               // 000000007298: 8652FF52 00FFFFFF
	s_mul_i32 s82, s82, s71                                    // 0000000072A0: 92524752
	s_mul_i32 s61, s60, s61                                    // 0000000072A4: 923D3D3C
	s_add_u32 s82, s82, s61                                    // 0000000072A8: 80523D52
	v_mul_lo_u32 v7, v4, s82                                   // 0000000072AC: D2850007 0000A504
	v_add_u32_e32 v38, v6, v7                                  // 0000000072B4: 684C0F06
	v_readlane_b32 s82, v3, 6                                  // 0000000072B8: D2890052 00010D03
	s_lshr_b32 s61, s82, 24                                    // 0000000072C0: 8F3D9852
	s_and_b32 s82, s82, 0xffffff                               // 0000000072C4: 8652FF52 00FFFFFF
	s_mul_i32 s82, s82, s71                                    // 0000000072CC: 92524752
	s_mul_i32 s61, s60, s61                                    // 0000000072D0: 923D3D3C
	s_add_u32 s82, s82, s61                                    // 0000000072D4: 80523D52
	v_mul_lo_u32 v6, v5, s82                                   // 0000000072D8: D2850006 0000A505
	v_readlane_b32 s82, v3, 7                                  // 0000000072E0: D2890052 00010F03
	s_lshr_b32 s61, s82, 24                                    // 0000000072E8: 8F3D9852
	s_and_b32 s82, s82, 0xffffff                               // 0000000072EC: 8652FF52 00FFFFFF
	s_mul_i32 s82, s82, s71                                    // 0000000072F4: 92524752
	s_mul_i32 s61, s60, s61                                    // 0000000072F8: 923D3D3C
	s_add_u32 s82, s82, s61                                    // 0000000072FC: 80523D52
	v_mul_lo_u32 v7, v4, s82                                   // 000000007300: D2850007 0000A504
	v_add_u32_e32 v39, v6, v7                                  // 000000007308: 684E0F06
	v_and_b32_e32 v4, 31, v0                                   // 00000000730C: 2608009F
	v_lshrrev_b32_e32 v4, 1, v4                                // 000000007310: 20080881
	s_cmp_eq_u32 s88, 0                                        // 000000007314: BF068058
	s_cselect_b32 s61, 2, 4                                    // 000000007318: 853D8482
	v_mul_lo_u32 v4, v4, s61                                   // 00000000731C: D2850004 00007B04
	v_and_b32_e64 v5, v0, 1                                    // 000000007324: D1130005 00010300
	v_add_u32_e32 v4, v4, v5                                   // 00000000732C: 68080B04
	v_lshlrev_b32_e32 v4, 2, v4                                // 000000007330: 24080882
	v_add_u32_e32 v36, v36, v4                                 // 000000007334: 68480924
	v_add_u32_e32 v37, v37, v4                                 // 000000007338: 684A0925
	v_add_u32_e32 v38, v38, v4                                 // 00000000733C: 684C0926
	v_add_u32_e32 v39, v39, v4                                 // 000000007340: 684E0927
	s_waitcnt lgkmcnt(0)                                       // 000000007344: BF8CC07F
	s_barrier                                                  // 000000007348: BF8A0000
	ds_read_b32 v44, v21                                       // 00000000734C: D86C0000 2C000015
	ds_read_b32 v45, v21 offset:64                             // 000000007354: D86C0040 2D000015
	ds_read_b32 v48, v21 offset:2176                           // 00000000735C: D86C0880 30000015
	ds_read_b32 v49, v21 offset:2240                           // 000000007364: D86C08C0 31000015
	ds_read_b32 v52, v21 offset:4352                           // 00000000736C: D86C1100 34000015
	ds_read_b32 v53, v21 offset:4416                           // 000000007374: D86C1140 35000015
	ds_read_b32 v56, v21 offset:6528                           // 00000000737C: D86C1980 38000015
	ds_read_b32 v57, v21 offset:6592                           // 000000007384: D86C19C0 39000015
	ds_read_b32 v60, v21 offset:8704                           // 00000000738C: D86C2200 3C000015
	ds_read_b32 v61, v21 offset:8768                           // 000000007394: D86C2240 3D000015
	ds_read_b32 v64, v21 offset:10880                          // 00000000739C: D86C2A80 40000015
	ds_read_b32 v65, v21 offset:10944                          // 0000000073A4: D86C2AC0 41000015
	ds_read_b32 v68, v21 offset:13056                          // 0000000073AC: D86C3300 44000015
	ds_read_b32 v69, v21 offset:13120                          // 0000000073B4: D86C3340 45000015
	ds_read_b32 v72, v21 offset:15232                          // 0000000073BC: D86C3B80 48000015
	ds_read_b32 v73, v21 offset:15296                          // 0000000073C4: D86C3BC0 49000015
	s_waitcnt lgkmcnt(0)                                       // 0000000073CC: BF8CC07F
	s_mov_b32 s36, -1                                          // 0000000073D0: BEA400C1
	s_mov_b32 s37, -1                                          // 0000000073D4: BEA500C1
	v_mov_b32_e32 v7, 0                                        // 0000000073D8: 7E0E0280
	s_mov_b64 exec, s[36:37]                                   // 0000000073DC: BEFE0124
	v_mov_b32_e32 v6, v36                                      // 0000000073E0: 7E0C0324
	s_mov_b64 s[60:61], 0                                      // 0000000073E4: BEBC0180
	v_readlane_b32 s82, v3, 0                                  // 0000000073E8: D2890052 00010103
	s_and_b32 s82, s82, 0xffffff                               // 0000000073F0: 8652FF52 00FFFFFF
	s_cmp_lt_u32 s82, s66                                      // 0000000073F8: BF0A4252
	s_cselect_b32 s20, s36, s60                                // 0000000073FC: 85143C24
	v_readlane_b32 s82, v3, 1                                  // 000000007400: D2890052 00010303
	s_and_b32 s82, s82, 0xffffff                               // 000000007408: 8652FF52 00FFFFFF
	s_cmp_lt_u32 s82, s66                                      // 000000007410: BF0A4252
	s_cselect_b32 s21, s36, s60                                // 000000007414: 85153C24
	s_mov_b64 exec, s[20:21]                                   // 000000007418: BEFE0114
	global_atomic_add_f32 v6, v44, s[8:9]                      // 00000000741C: DD348000 00082C06
	global_atomic_add_f32 v6, v48, s[8:9] offset:256           // 000000007424: DD348100 00083006
	global_atomic_add_f32 v6, v52, s[8:9] offset:512           // 00000000742C: DD348200 00083406
	global_atomic_add_f32 v6, v56, s[8:9] offset:768           // 000000007434: DD348300 00083806
	s_mov_b64 exec, s[36:37]                                   // 00000000743C: BEFE0124
	v_mov_b32_e32 v6, v37                                      // 000000007440: 7E0C0325
	s_mov_b64 s[60:61], 0                                      // 000000007444: BEBC0180
	v_readlane_b32 s82, v3, 2                                  // 000000007448: D2890052 00010503
	s_and_b32 s82, s82, 0xffffff                               // 000000007450: 8652FF52 00FFFFFF
	s_cmp_lt_u32 s82, s66                                      // 000000007458: BF0A4252
	s_cselect_b32 s20, s36, s60                                // 00000000745C: 85143C24
	v_readlane_b32 s82, v3, 3                                  // 000000007460: D2890052 00010703
	s_and_b32 s82, s82, 0xffffff                               // 000000007468: 8652FF52 00FFFFFF
	s_cmp_lt_u32 s82, s66                                      // 000000007470: BF0A4252
	s_cselect_b32 s21, s36, s60                                // 000000007474: 85153C24
	s_mov_b64 exec, s[20:21]                                   // 000000007478: BEFE0114
	global_atomic_add_f32 v6, v45, s[8:9]                      // 00000000747C: DD348000 00082D06
	global_atomic_add_f32 v6, v49, s[8:9] offset:256           // 000000007484: DD348100 00083106
	global_atomic_add_f32 v6, v53, s[8:9] offset:512           // 00000000748C: DD348200 00083506
	global_atomic_add_f32 v6, v57, s[8:9] offset:768           // 000000007494: DD348300 00083906
	s_mov_b64 exec, s[36:37]                                   // 00000000749C: BEFE0124
	v_mov_b32_e32 v6, v38                                      // 0000000074A0: 7E0C0326
	s_mov_b64 s[60:61], 0                                      // 0000000074A4: BEBC0180
	v_readlane_b32 s82, v3, 4                                  // 0000000074A8: D2890052 00010903
	s_and_b32 s82, s82, 0xffffff                               // 0000000074B0: 8652FF52 00FFFFFF
	s_cmp_lt_u32 s82, s66                                      // 0000000074B8: BF0A4252
	s_cselect_b32 s20, s36, s60                                // 0000000074BC: 85143C24
	v_readlane_b32 s82, v3, 5                                  // 0000000074C0: D2890052 00010B03
	s_and_b32 s82, s82, 0xffffff                               // 0000000074C8: 8652FF52 00FFFFFF
	s_cmp_lt_u32 s82, s66                                      // 0000000074D0: BF0A4252
	s_cselect_b32 s21, s36, s60                                // 0000000074D4: 85153C24
	s_mov_b64 exec, s[20:21]                                   // 0000000074D8: BEFE0114
	global_atomic_add_f32 v6, v60, s[8:9]                      // 0000000074DC: DD348000 00083C06
	global_atomic_add_f32 v6, v64, s[8:9] offset:256           // 0000000074E4: DD348100 00084006
	global_atomic_add_f32 v6, v68, s[8:9] offset:512           // 0000000074EC: DD348200 00084406
	global_atomic_add_f32 v6, v72, s[8:9] offset:768           // 0000000074F4: DD348300 00084806
	s_mov_b64 exec, s[36:37]                                   // 0000000074FC: BEFE0124
	v_mov_b32_e32 v6, v39                                      // 000000007500: 7E0C0327
	s_mov_b64 s[60:61], 0                                      // 000000007504: BEBC0180
	v_readlane_b32 s82, v3, 6                                  // 000000007508: D2890052 00010D03
	s_and_b32 s82, s82, 0xffffff                               // 000000007510: 8652FF52 00FFFFFF
	s_cmp_lt_u32 s82, s66                                      // 000000007518: BF0A4252
	s_cselect_b32 s20, s36, s60                                // 00000000751C: 85143C24
	v_readlane_b32 s82, v3, 7                                  // 000000007520: D2890052 00010F03
	s_and_b32 s82, s82, 0xffffff                               // 000000007528: 8652FF52 00FFFFFF
	s_cmp_lt_u32 s82, s66                                      // 000000007530: BF0A4252
	s_cselect_b32 s21, s36, s60                                // 000000007534: 85153C24
	s_mov_b64 exec, s[20:21]                                   // 000000007538: BEFE0114
	global_atomic_add_f32 v6, v61, s[8:9]                      // 00000000753C: DD348000 00083D06
	global_atomic_add_f32 v6, v65, s[8:9] offset:256           // 000000007544: DD348100 00084106
	global_atomic_add_f32 v6, v69, s[8:9] offset:512           // 00000000754C: DD348200 00084506
	global_atomic_add_f32 v6, v73, s[8:9] offset:768           // 000000007554: DD348300 00084906
	s_mov_b64 exec, s[36:37]                                   // 00000000755C: BEFE0124
	ds_write_b64 v20, v[46:47]                                 // 000000007560: D89A0000 00002E14
	ds_write_b64 v20, v[50:51] offset:8704                     // 000000007568: D89A2200 00003214
	ds_write_b64 v20, v[54:55] offset:2176                     // 000000007570: D89A0880 00003614
	ds_write_b64 v20, v[58:59] offset:10880                    // 000000007578: D89A2A80 00003A14
	ds_write_b64 v20, v[62:63] offset:4352                     // 000000007580: D89A1100 00003E14
	ds_write_b64 v20, v[66:67] offset:13056                    // 000000007588: D89A3300 00004214
	ds_write_b64 v20, v[70:71] offset:6528                     // 000000007590: D89A1980 00004614
	ds_write_b64 v20, v[74:75] offset:15232                    // 000000007598: D89A3B80 00004A14
	s_waitcnt lgkmcnt(0)                                       // 0000000075A0: BF8CC07F
	s_barrier                                                  // 0000000075A4: BF8A0000
	ds_read_b32 v46, v21                                       // 0000000075A8: D86C0000 2E000015
	ds_read_b32 v47, v21 offset:64                             // 0000000075B0: D86C0040 2F000015
	ds_read_b32 v50, v21 offset:2176                           // 0000000075B8: D86C0880 32000015
	ds_read_b32 v51, v21 offset:2240                           // 0000000075C0: D86C08C0 33000015
	ds_read_b32 v54, v21 offset:4352                           // 0000000075C8: D86C1100 36000015
	ds_read_b32 v55, v21 offset:4416                           // 0000000075D0: D86C1140 37000015
	ds_read_b32 v58, v21 offset:6528                           // 0000000075D8: D86C1980 3A000015
	ds_read_b32 v59, v21 offset:6592                           // 0000000075E0: D86C19C0 3B000015
	ds_read_b32 v62, v21 offset:8704                           // 0000000075E8: D86C2200 3E000015
	ds_read_b32 v63, v21 offset:8768                           // 0000000075F0: D86C2240 3F000015
	ds_read_b32 v66, v21 offset:10880                          // 0000000075F8: D86C2A80 42000015
	ds_read_b32 v67, v21 offset:10944                          // 000000007600: D86C2AC0 43000015
	ds_read_b32 v70, v21 offset:13056                          // 000000007608: D86C3300 46000015
	ds_read_b32 v71, v21 offset:13120                          // 000000007610: D86C3340 47000015
	ds_read_b32 v74, v21 offset:15232                          // 000000007618: D86C3B80 4A000015
	ds_read_b32 v75, v21 offset:15296                          // 000000007620: D86C3BC0 4B000015
	s_waitcnt lgkmcnt(0)                                       // 000000007628: BF8CC07F
	v_mov_b32_e32 v7, 0                                        // 00000000762C: 7E0E0280
	s_mov_b64 exec, s[36:37]                                   // 000000007630: BEFE0124
	v_mov_b32_e32 v6, v36                                      // 000000007634: 7E0C0324
	s_mov_b64 s[60:61], 0                                      // 000000007638: BEBC0180
	v_readlane_b32 s82, v3, 0                                  // 00000000763C: D2890052 00010103
	s_and_b32 s82, s82, 0xffffff                               // 000000007644: 8652FF52 00FFFFFF
	s_cmp_lt_u32 s82, s66                                      // 00000000764C: BF0A4252
	s_cselect_b32 s20, s36, s60                                // 000000007650: 85143C24
	v_readlane_b32 s82, v3, 1                                  // 000000007654: D2890052 00010303
	s_and_b32 s82, s82, 0xffffff                               // 00000000765C: 8652FF52 00FFFFFF
	s_cmp_lt_u32 s82, s66                                      // 000000007664: BF0A4252
	s_cselect_b32 s21, s36, s60                                // 000000007668: 85153C24
	s_mov_b64 exec, s[20:21]                                   // 00000000766C: BEFE0114
	global_atomic_add_f32 v6, v46, s[8:9] offset:8             // 000000007670: DD348008 00082E06
	global_atomic_add_f32 v6, v50, s[8:9] offset:264           // 000000007678: DD348108 00083206
	global_atomic_add_f32 v6, v54, s[8:9] offset:520           // 000000007680: DD348208 00083606
	global_atomic_add_f32 v6, v58, s[8:9] offset:776           // 000000007688: DD348308 00083A06
	s_mov_b64 exec, s[36:37]                                   // 000000007690: BEFE0124
	v_mov_b32_e32 v6, v37                                      // 000000007694: 7E0C0325
	s_mov_b64 s[60:61], 0                                      // 000000007698: BEBC0180
	v_readlane_b32 s82, v3, 2                                  // 00000000769C: D2890052 00010503
	s_and_b32 s82, s82, 0xffffff                               // 0000000076A4: 8652FF52 00FFFFFF
	s_cmp_lt_u32 s82, s66                                      // 0000000076AC: BF0A4252
	s_cselect_b32 s20, s36, s60                                // 0000000076B0: 85143C24
	v_readlane_b32 s82, v3, 3                                  // 0000000076B4: D2890052 00010703
	s_and_b32 s82, s82, 0xffffff                               // 0000000076BC: 8652FF52 00FFFFFF
	s_cmp_lt_u32 s82, s66                                      // 0000000076C4: BF0A4252
	s_cselect_b32 s21, s36, s60                                // 0000000076C8: 85153C24
	s_mov_b64 exec, s[20:21]                                   // 0000000076CC: BEFE0114
	global_atomic_add_f32 v6, v47, s[8:9] offset:8             // 0000000076D0: DD348008 00082F06
	global_atomic_add_f32 v6, v51, s[8:9] offset:264           // 0000000076D8: DD348108 00083306
	global_atomic_add_f32 v6, v55, s[8:9] offset:520           // 0000000076E0: DD348208 00083706
	global_atomic_add_f32 v6, v59, s[8:9] offset:776           // 0000000076E8: DD348308 00083B06
	s_mov_b64 exec, s[36:37]                                   // 0000000076F0: BEFE0124
	v_mov_b32_e32 v6, v38                                      // 0000000076F4: 7E0C0326
	s_mov_b64 s[60:61], 0                                      // 0000000076F8: BEBC0180
	v_readlane_b32 s82, v3, 4                                  // 0000000076FC: D2890052 00010903
	s_and_b32 s82, s82, 0xffffff                               // 000000007704: 8652FF52 00FFFFFF
	s_cmp_lt_u32 s82, s66                                      // 00000000770C: BF0A4252
	s_cselect_b32 s20, s36, s60                                // 000000007710: 85143C24
	v_readlane_b32 s82, v3, 5                                  // 000000007714: D2890052 00010B03
	s_and_b32 s82, s82, 0xffffff                               // 00000000771C: 8652FF52 00FFFFFF
	s_cmp_lt_u32 s82, s66                                      // 000000007724: BF0A4252
	s_cselect_b32 s21, s36, s60                                // 000000007728: 85153C24
	s_mov_b64 exec, s[20:21]                                   // 00000000772C: BEFE0114
	global_atomic_add_f32 v6, v62, s[8:9] offset:8             // 000000007730: DD348008 00083E06
	global_atomic_add_f32 v6, v66, s[8:9] offset:264           // 000000007738: DD348108 00084206
	global_atomic_add_f32 v6, v70, s[8:9] offset:520           // 000000007740: DD348208 00084606
	global_atomic_add_f32 v6, v74, s[8:9] offset:776           // 000000007748: DD348308 00084A06
	s_mov_b64 exec, s[36:37]                                   // 000000007750: BEFE0124
	v_mov_b32_e32 v6, v39                                      // 000000007754: 7E0C0327
	s_mov_b64 s[60:61], 0                                      // 000000007758: BEBC0180
	v_readlane_b32 s82, v3, 6                                  // 00000000775C: D2890052 00010D03
	s_and_b32 s82, s82, 0xffffff                               // 000000007764: 8652FF52 00FFFFFF
	s_cmp_lt_u32 s82, s66                                      // 00000000776C: BF0A4252
	s_cselect_b32 s20, s36, s60                                // 000000007770: 85143C24
	v_readlane_b32 s82, v3, 7                                  // 000000007774: D2890052 00010F03
	s_and_b32 s82, s82, 0xffffff                               // 00000000777C: 8652FF52 00FFFFFF
	s_cmp_lt_u32 s82, s66                                      // 000000007784: BF0A4252
	s_cselect_b32 s21, s36, s60                                // 000000007788: 85153C24
	s_mov_b64 exec, s[20:21]                                   // 00000000778C: BEFE0114
	global_atomic_add_f32 v6, v63, s[8:9] offset:8             // 000000007790: DD348008 00083F06
	global_atomic_add_f32 v6, v67, s[8:9] offset:264           // 000000007798: DD348108 00084306
	global_atomic_add_f32 v6, v71, s[8:9] offset:520           // 0000000077A0: DD348208 00084706
	global_atomic_add_f32 v6, v75, s[8:9] offset:776           // 0000000077A8: DD348308 00084B06
	s_mov_b64 exec, s[36:37]                                   // 0000000077B0: BEFE0124
	ds_write_b64 v20, v[76:77]                                 // 0000000077B4: D89A0000 00004C14
	ds_write_b64 v20, v[80:81] offset:8704                     // 0000000077BC: D89A2200 00005014
	ds_write_b64 v20, v[84:85] offset:2176                     // 0000000077C4: D89A0880 00005414
	ds_write_b64 v20, v[88:89] offset:10880                    // 0000000077CC: D89A2A80 00005814
	ds_write_b64 v20, v[92:93] offset:4352                     // 0000000077D4: D89A1100 00005C14
	ds_write_b64 v20, v[96:97] offset:13056                    // 0000000077DC: D89A3300 00006014
	ds_write_b64 v20, v[100:101] offset:6528                   // 0000000077E4: D89A1980 00006414
	ds_write_b64 v20, v[104:105] offset:15232                  // 0000000077EC: D89A3B80 00006814
	s_waitcnt lgkmcnt(0)                                       // 0000000077F4: BF8CC07F
	s_barrier                                                  // 0000000077F8: BF8A0000
	ds_read_b32 v76, v21                                       // 0000000077FC: D86C0000 4C000015
	ds_read_b32 v77, v21 offset:64                             // 000000007804: D86C0040 4D000015
	ds_read_b32 v80, v21 offset:2176                           // 00000000780C: D86C0880 50000015
	ds_read_b32 v81, v21 offset:2240                           // 000000007814: D86C08C0 51000015
	ds_read_b32 v84, v21 offset:4352                           // 00000000781C: D86C1100 54000015
	ds_read_b32 v85, v21 offset:4416                           // 000000007824: D86C1140 55000015
	ds_read_b32 v88, v21 offset:6528                           // 00000000782C: D86C1980 58000015
	ds_read_b32 v89, v21 offset:6592                           // 000000007834: D86C19C0 59000015
	ds_read_b32 v92, v21 offset:8704                           // 00000000783C: D86C2200 5C000015
	ds_read_b32 v93, v21 offset:8768                           // 000000007844: D86C2240 5D000015
	ds_read_b32 v96, v21 offset:10880                          // 00000000784C: D86C2A80 60000015
	ds_read_b32 v97, v21 offset:10944                          // 000000007854: D86C2AC0 61000015
	ds_read_b32 v100, v21 offset:13056                         // 00000000785C: D86C3300 64000015
	ds_read_b32 v101, v21 offset:13120                         // 000000007864: D86C3340 65000015
	ds_read_b32 v104, v21 offset:15232                         // 00000000786C: D86C3B80 68000015
	ds_read_b32 v105, v21 offset:15296                         // 000000007874: D86C3BC0 69000015
	s_mul_i32 s60, s65, 4                                      // 00000000787C: 923C8441
	s_add_u32 s8, s60, s8                                      // 000000007880: 8008083C
	s_addc_u32 s9, 0, s9                                       // 000000007884: 82090980
	s_waitcnt lgkmcnt(0)                                       // 000000007888: BF8CC07F
	v_mov_b32_e32 v7, 0                                        // 00000000788C: 7E0E0280
	s_mov_b64 exec, s[36:37]                                   // 000000007890: BEFE0124
	v_mov_b32_e32 v6, v36                                      // 000000007894: 7E0C0324
	s_mov_b64 s[60:61], 0                                      // 000000007898: BEBC0180
	v_readlane_b32 s82, v3, 0                                  // 00000000789C: D2890052 00010103
	s_and_b32 s82, s82, 0xffffff                               // 0000000078A4: 8652FF52 00FFFFFF
	s_cmp_lt_u32 s82, s66                                      // 0000000078AC: BF0A4252
	s_cselect_b32 s20, s36, s60                                // 0000000078B0: 85143C24
	v_readlane_b32 s82, v3, 1                                  // 0000000078B4: D2890052 00010303
	s_and_b32 s82, s82, 0xffffff                               // 0000000078BC: 8652FF52 00FFFFFF
	s_cmp_lt_u32 s82, s66                                      // 0000000078C4: BF0A4252
	s_cselect_b32 s21, s36, s60                                // 0000000078C8: 85153C24
	s_mov_b64 exec, s[20:21]                                   // 0000000078CC: BEFE0114
	global_atomic_add_f32 v6, v76, s[8:9]                      // 0000000078D0: DD348000 00084C06
	global_atomic_add_f32 v6, v80, s[8:9] offset:256           // 0000000078D8: DD348100 00085006
	global_atomic_add_f32 v6, v84, s[8:9] offset:512           // 0000000078E0: DD348200 00085406
	global_atomic_add_f32 v6, v88, s[8:9] offset:768           // 0000000078E8: DD348300 00085806
	s_mov_b64 exec, s[36:37]                                   // 0000000078F0: BEFE0124
	v_mov_b32_e32 v6, v37                                      // 0000000078F4: 7E0C0325
	s_mov_b64 s[60:61], 0                                      // 0000000078F8: BEBC0180
	v_readlane_b32 s82, v3, 2                                  // 0000000078FC: D2890052 00010503
	s_and_b32 s82, s82, 0xffffff                               // 000000007904: 8652FF52 00FFFFFF
	s_cmp_lt_u32 s82, s66                                      // 00000000790C: BF0A4252
	s_cselect_b32 s20, s36, s60                                // 000000007910: 85143C24
	v_readlane_b32 s82, v3, 3                                  // 000000007914: D2890052 00010703
	s_and_b32 s82, s82, 0xffffff                               // 00000000791C: 8652FF52 00FFFFFF
	s_cmp_lt_u32 s82, s66                                      // 000000007924: BF0A4252
	s_cselect_b32 s21, s36, s60                                // 000000007928: 85153C24
	s_mov_b64 exec, s[20:21]                                   // 00000000792C: BEFE0114
	global_atomic_add_f32 v6, v77, s[8:9]                      // 000000007930: DD348000 00084D06
	global_atomic_add_f32 v6, v81, s[8:9] offset:256           // 000000007938: DD348100 00085106
	global_atomic_add_f32 v6, v85, s[8:9] offset:512           // 000000007940: DD348200 00085506
	global_atomic_add_f32 v6, v89, s[8:9] offset:768           // 000000007948: DD348300 00085906
	s_mov_b64 exec, s[36:37]                                   // 000000007950: BEFE0124
	v_mov_b32_e32 v6, v38                                      // 000000007954: 7E0C0326
	s_mov_b64 s[60:61], 0                                      // 000000007958: BEBC0180
	v_readlane_b32 s82, v3, 4                                  // 00000000795C: D2890052 00010903
	s_and_b32 s82, s82, 0xffffff                               // 000000007964: 8652FF52 00FFFFFF
	s_cmp_lt_u32 s82, s66                                      // 00000000796C: BF0A4252
	s_cselect_b32 s20, s36, s60                                // 000000007970: 85143C24
	v_readlane_b32 s82, v3, 5                                  // 000000007974: D2890052 00010B03
	s_and_b32 s82, s82, 0xffffff                               // 00000000797C: 8652FF52 00FFFFFF
	s_cmp_lt_u32 s82, s66                                      // 000000007984: BF0A4252
	s_cselect_b32 s21, s36, s60                                // 000000007988: 85153C24
	s_mov_b64 exec, s[20:21]                                   // 00000000798C: BEFE0114
	global_atomic_add_f32 v6, v92, s[8:9]                      // 000000007990: DD348000 00085C06
	global_atomic_add_f32 v6, v96, s[8:9] offset:256           // 000000007998: DD348100 00086006
	global_atomic_add_f32 v6, v100, s[8:9] offset:512          // 0000000079A0: DD348200 00086406
	global_atomic_add_f32 v6, v104, s[8:9] offset:768          // 0000000079A8: DD348300 00086806
	s_mov_b64 exec, s[36:37]                                   // 0000000079B0: BEFE0124
	v_mov_b32_e32 v6, v39                                      // 0000000079B4: 7E0C0327
	s_mov_b64 s[60:61], 0                                      // 0000000079B8: BEBC0180
	v_readlane_b32 s82, v3, 6                                  // 0000000079BC: D2890052 00010D03
	s_and_b32 s82, s82, 0xffffff                               // 0000000079C4: 8652FF52 00FFFFFF
	s_cmp_lt_u32 s82, s66                                      // 0000000079CC: BF0A4252
	s_cselect_b32 s20, s36, s60                                // 0000000079D0: 85143C24
	v_readlane_b32 s82, v3, 7                                  // 0000000079D4: D2890052 00010F03
	s_and_b32 s82, s82, 0xffffff                               // 0000000079DC: 8652FF52 00FFFFFF
	s_cmp_lt_u32 s82, s66                                      // 0000000079E4: BF0A4252
	s_cselect_b32 s21, s36, s60                                // 0000000079E8: 85153C24
	s_mov_b64 exec, s[20:21]                                   // 0000000079EC: BEFE0114
	global_atomic_add_f32 v6, v93, s[8:9]                      // 0000000079F0: DD348000 00085D06
	global_atomic_add_f32 v6, v97, s[8:9] offset:256           // 0000000079F8: DD348100 00086106
	global_atomic_add_f32 v6, v101, s[8:9] offset:512          // 000000007A00: DD348200 00086506
	global_atomic_add_f32 v6, v105, s[8:9] offset:768          // 000000007A08: DD348300 00086906
	s_mov_b64 exec, s[36:37]                                   // 000000007A10: BEFE0124
	ds_write_b64 v20, v[78:79]                                 // 000000007A14: D89A0000 00004E14
	ds_write_b64 v20, v[82:83] offset:8704                     // 000000007A1C: D89A2200 00005214
	ds_write_b64 v20, v[86:87] offset:2176                     // 000000007A24: D89A0880 00005614
	ds_write_b64 v20, v[90:91] offset:10880                    // 000000007A2C: D89A2A80 00005A14
	ds_write_b64 v20, v[94:95] offset:4352                     // 000000007A34: D89A1100 00005E14
	ds_write_b64 v20, v[98:99] offset:13056                    // 000000007A3C: D89A3300 00006214
	ds_write_b64 v20, v[102:103] offset:6528                   // 000000007A44: D89A1980 00006614
	ds_write_b64 v20, v[106:107] offset:15232                  // 000000007A4C: D89A3B80 00006A14
	s_waitcnt lgkmcnt(0)                                       // 000000007A54: BF8CC07F
	s_barrier                                                  // 000000007A58: BF8A0000
	ds_read_b32 v78, v21                                       // 000000007A5C: D86C0000 4E000015
	ds_read_b32 v79, v21 offset:64                             // 000000007A64: D86C0040 4F000015
	ds_read_b32 v82, v21 offset:2176                           // 000000007A6C: D86C0880 52000015
	ds_read_b32 v83, v21 offset:2240                           // 000000007A74: D86C08C0 53000015
	ds_read_b32 v86, v21 offset:4352                           // 000000007A7C: D86C1100 56000015
	ds_read_b32 v87, v21 offset:4416                           // 000000007A84: D86C1140 57000015
	ds_read_b32 v90, v21 offset:6528                           // 000000007A8C: D86C1980 5A000015
	ds_read_b32 v91, v21 offset:6592                           // 000000007A94: D86C19C0 5B000015
	ds_read_b32 v94, v21 offset:8704                           // 000000007A9C: D86C2200 5E000015
	ds_read_b32 v95, v21 offset:8768                           // 000000007AA4: D86C2240 5F000015
	ds_read_b32 v98, v21 offset:10880                          // 000000007AAC: D86C2A80 62000015
	ds_read_b32 v99, v21 offset:10944                          // 000000007AB4: D86C2AC0 63000015
	ds_read_b32 v102, v21 offset:13056                         // 000000007ABC: D86C3300 66000015
	ds_read_b32 v103, v21 offset:13120                         // 000000007AC4: D86C3340 67000015
	ds_read_b32 v106, v21 offset:15232                         // 000000007ACC: D86C3B80 6A000015
	ds_read_b32 v107, v21 offset:15296                         // 000000007AD4: D86C3BC0 6B000015
	s_waitcnt lgkmcnt(0)                                       // 000000007ADC: BF8CC07F
	v_mov_b32_e32 v7, 0                                        // 000000007AE0: 7E0E0280
	s_mov_b64 exec, s[36:37]                                   // 000000007AE4: BEFE0124
	v_mov_b32_e32 v6, v36                                      // 000000007AE8: 7E0C0324
	s_mov_b64 s[60:61], 0                                      // 000000007AEC: BEBC0180
	v_readlane_b32 s82, v3, 0                                  // 000000007AF0: D2890052 00010103
	s_and_b32 s82, s82, 0xffffff                               // 000000007AF8: 8652FF52 00FFFFFF
	s_cmp_lt_u32 s82, s66                                      // 000000007B00: BF0A4252
	s_cselect_b32 s20, s36, s60                                // 000000007B04: 85143C24
	v_readlane_b32 s82, v3, 1                                  // 000000007B08: D2890052 00010303
	s_and_b32 s82, s82, 0xffffff                               // 000000007B10: 8652FF52 00FFFFFF
	s_cmp_lt_u32 s82, s66                                      // 000000007B18: BF0A4252
	s_cselect_b32 s21, s36, s60                                // 000000007B1C: 85153C24
	s_mov_b64 exec, s[20:21]                                   // 000000007B20: BEFE0114
	global_atomic_add_f32 v6, v78, s[8:9] offset:8             // 000000007B24: DD348008 00084E06
	global_atomic_add_f32 v6, v82, s[8:9] offset:264           // 000000007B2C: DD348108 00085206
	global_atomic_add_f32 v6, v86, s[8:9] offset:520           // 000000007B34: DD348208 00085606
	global_atomic_add_f32 v6, v90, s[8:9] offset:776           // 000000007B3C: DD348308 00085A06
	s_mov_b64 exec, s[36:37]                                   // 000000007B44: BEFE0124
	v_mov_b32_e32 v6, v37                                      // 000000007B48: 7E0C0325
	s_mov_b64 s[60:61], 0                                      // 000000007B4C: BEBC0180
	v_readlane_b32 s82, v3, 2                                  // 000000007B50: D2890052 00010503
	s_and_b32 s82, s82, 0xffffff                               // 000000007B58: 8652FF52 00FFFFFF
	s_cmp_lt_u32 s82, s66                                      // 000000007B60: BF0A4252
	s_cselect_b32 s20, s36, s60                                // 000000007B64: 85143C24
	v_readlane_b32 s82, v3, 3                                  // 000000007B68: D2890052 00010703
	s_and_b32 s82, s82, 0xffffff                               // 000000007B70: 8652FF52 00FFFFFF
	s_cmp_lt_u32 s82, s66                                      // 000000007B78: BF0A4252
	s_cselect_b32 s21, s36, s60                                // 000000007B7C: 85153C24
	s_mov_b64 exec, s[20:21]                                   // 000000007B80: BEFE0114
	global_atomic_add_f32 v6, v79, s[8:9] offset:8             // 000000007B84: DD348008 00084F06
	global_atomic_add_f32 v6, v83, s[8:9] offset:264           // 000000007B8C: DD348108 00085306
	global_atomic_add_f32 v6, v87, s[8:9] offset:520           // 000000007B94: DD348208 00085706
	global_atomic_add_f32 v6, v91, s[8:9] offset:776           // 000000007B9C: DD348308 00085B06
	s_mov_b64 exec, s[36:37]                                   // 000000007BA4: BEFE0124
	v_mov_b32_e32 v6, v38                                      // 000000007BA8: 7E0C0326
	s_mov_b64 s[60:61], 0                                      // 000000007BAC: BEBC0180
	v_readlane_b32 s82, v3, 4                                  // 000000007BB0: D2890052 00010903
	s_and_b32 s82, s82, 0xffffff                               // 000000007BB8: 8652FF52 00FFFFFF
	s_cmp_lt_u32 s82, s66                                      // 000000007BC0: BF0A4252
	s_cselect_b32 s20, s36, s60                                // 000000007BC4: 85143C24
	v_readlane_b32 s82, v3, 5                                  // 000000007BC8: D2890052 00010B03
	s_and_b32 s82, s82, 0xffffff                               // 000000007BD0: 8652FF52 00FFFFFF
	s_cmp_lt_u32 s82, s66                                      // 000000007BD8: BF0A4252
	s_cselect_b32 s21, s36, s60                                // 000000007BDC: 85153C24
	s_mov_b64 exec, s[20:21]                                   // 000000007BE0: BEFE0114
	global_atomic_add_f32 v6, v94, s[8:9] offset:8             // 000000007BE4: DD348008 00085E06
	global_atomic_add_f32 v6, v98, s[8:9] offset:264           // 000000007BEC: DD348108 00086206
	global_atomic_add_f32 v6, v102, s[8:9] offset:520          // 000000007BF4: DD348208 00086606
	global_atomic_add_f32 v6, v106, s[8:9] offset:776          // 000000007BFC: DD348308 00086A06
	s_mov_b64 exec, s[36:37]                                   // 000000007C04: BEFE0124
	v_mov_b32_e32 v6, v39                                      // 000000007C08: 7E0C0327
	s_mov_b64 s[60:61], 0                                      // 000000007C0C: BEBC0180
	v_readlane_b32 s82, v3, 6                                  // 000000007C10: D2890052 00010D03
	s_and_b32 s82, s82, 0xffffff                               // 000000007C18: 8652FF52 00FFFFFF
	s_cmp_lt_u32 s82, s66                                      // 000000007C20: BF0A4252
	s_cselect_b32 s20, s36, s60                                // 000000007C24: 85143C24
	v_readlane_b32 s82, v3, 7                                  // 000000007C28: D2890052 00010F03
	s_and_b32 s82, s82, 0xffffff                               // 000000007C30: 8652FF52 00FFFFFF
	s_cmp_lt_u32 s82, s66                                      // 000000007C38: BF0A4252
	s_cselect_b32 s21, s36, s60                                // 000000007C3C: 85153C24
	s_mov_b64 exec, s[20:21]                                   // 000000007C40: BEFE0114
	global_atomic_add_f32 v6, v95, s[8:9] offset:8             // 000000007C44: DD348008 00085F06
	global_atomic_add_f32 v6, v99, s[8:9] offset:264           // 000000007C4C: DD348108 00086306
	global_atomic_add_f32 v6, v103, s[8:9] offset:520          // 000000007C54: DD348208 00086706
	global_atomic_add_f32 v6, v107, s[8:9] offset:776          // 000000007C5C: DD348308 00086B06
	s_mov_b64 exec, s[36:37]                                   // 000000007C64: BEFE0124
	s_branch label_149E                                        // 000000007C68: BF820000

0000000000007c6c <label_149E>:
	s_waitcnt vmcnt(0) expcnt(0) lgkmcnt(0)                    // 000000007C6C: BF8C0000
	s_endpgm                                                   // 000000007C70: BF810000
